;; amdgpu-corpus repo=ROCm/rocFFT kind=compiled arch=gfx1100 opt=O3
	.text
	.amdgcn_target "amdgcn-amd-amdhsa--gfx1100"
	.amdhsa_code_object_version 6
	.protected	bluestein_single_back_len1859_dim1_dp_op_CI_CI ; -- Begin function bluestein_single_back_len1859_dim1_dp_op_CI_CI
	.globl	bluestein_single_back_len1859_dim1_dp_op_CI_CI
	.p2align	8
	.type	bluestein_single_back_len1859_dim1_dp_op_CI_CI,@function
bluestein_single_back_len1859_dim1_dp_op_CI_CI: ; @bluestein_single_back_len1859_dim1_dp_op_CI_CI
; %bb.0:
	s_load_b128 s[4:7], s[0:1], 0x28
	v_mul_u32_u24_e32 v1, 0x184, v0
	s_mov_b32 s2, exec_lo
	v_mov_b32_e32 v149, 0
	s_delay_alu instid0(VALU_DEP_2) | instskip(NEXT) | instid1(VALU_DEP_1)
	v_lshrrev_b32_e32 v1, 16, v1
	v_add_nc_u32_e32 v148, s15, v1
	s_waitcnt lgkmcnt(0)
	s_delay_alu instid0(VALU_DEP_1)
	v_cmpx_gt_u64_e64 s[4:5], v[148:149]
	s_cbranch_execz .LBB0_23
; %bb.1:
	s_clause 0x1
	s_load_b64 s[14:15], s[0:1], 0x0
	s_load_b64 s[12:13], s[0:1], 0x38
	v_mul_lo_u16 v1, 0xa9, v1
	s_delay_alu instid0(VALU_DEP_1) | instskip(NEXT) | instid1(VALU_DEP_1)
	v_sub_nc_u16 v0, v0, v1
	v_and_b32_e32 v254, 0xffff, v0
	v_cmp_gt_u16_e32 vcc_lo, 0x8f, v0
	s_delay_alu instid0(VALU_DEP_2)
	v_lshlrev_b32_e32 v245, 4, v254
	s_and_saveexec_b32 s3, vcc_lo
	s_cbranch_execz .LBB0_3
; %bb.2:
	s_load_b64 s[4:5], s[0:1], 0x18
	s_waitcnt lgkmcnt(0)
	v_add_co_u32 v11, s2, s14, v245
	s_delay_alu instid0(VALU_DEP_1) | instskip(NEXT) | instid1(VALU_DEP_2)
	v_add_co_ci_u32_e64 v14, null, s15, 0, s2
	v_add_co_u32 v12, s2, 0x1000, v11
	s_delay_alu instid0(VALU_DEP_1) | instskip(SKIP_1) | instid1(VALU_DEP_1)
	v_add_co_ci_u32_e64 v13, s2, 0, v14, s2
	v_add_co_u32 v20, s2, 0x2000, v11
	v_add_co_ci_u32_e64 v21, s2, 0, v14, s2
	v_add_co_u32 v28, s2, 0x3000, v11
	s_delay_alu instid0(VALU_DEP_1) | instskip(SKIP_4) | instid1(VALU_DEP_1)
	v_add_co_ci_u32_e64 v29, s2, 0, v14, s2
	v_add_co_u32 v32, s2, 0x4000, v11
	s_load_b128 s[8:11], s[4:5], 0x0
	v_add_co_ci_u32_e64 v33, s2, 0, v14, s2
	v_add_co_u32 v40, s2, 0x5000, v11
	v_add_co_ci_u32_e64 v41, s2, 0, v14, s2
	v_add_co_u32 v96, s2, 0x6000, v11
	s_delay_alu instid0(VALU_DEP_1)
	v_add_co_ci_u32_e64 v97, s2, 0, v14, s2
	s_clause 0x1
	global_load_b128 v[0:3], v245, s[14:15]
	global_load_b128 v[4:7], v245, s[14:15] offset:2288
	s_waitcnt lgkmcnt(0)
	v_mad_u64_u32 v[16:17], null, s10, v148, 0
	v_mad_u64_u32 v[24:25], null, s8, v254, 0
	s_mul_i32 s4, s9, 0x8f0
	s_mul_hi_u32 s5, s8, 0x8f0
	s_delay_alu instid0(SALU_CYCLE_1) | instskip(NEXT) | instid1(VALU_DEP_2)
	s_add_i32 s5, s5, s4
	v_mov_b32_e32 v8, v17
	s_delay_alu instid0(VALU_DEP_1) | instskip(NEXT) | instid1(VALU_DEP_3)
	v_mad_u64_u32 v[9:10], null, s11, v148, v[8:9]
	v_mov_b32_e32 v8, v25
	s_delay_alu instid0(VALU_DEP_1)
	v_mad_u64_u32 v[18:19], null, s9, v254, v[8:9]
	v_mov_b32_e32 v17, v9
	s_clause 0x1
	global_load_b128 v[8:11], v[12:13], off offset:480
	global_load_b128 v[12:15], v[12:13], off offset:2768
	v_lshlrev_b64 v[26:27], 4, v[16:17]
	v_mov_b32_e32 v25, v18
	s_clause 0x1
	global_load_b128 v[16:19], v[20:21], off offset:960
	global_load_b128 v[20:23], v[20:21], off offset:3248
	v_add_co_u32 v26, s2, s6, v26
	v_lshlrev_b64 v[24:25], 4, v[24:25]
	v_add_co_ci_u32_e64 v27, s2, s7, v27, s2
	s_mul_i32 s6, s8, 0x8f0
	s_delay_alu instid0(VALU_DEP_2) | instskip(NEXT) | instid1(VALU_DEP_1)
	v_add_co_u32 v44, s2, v26, v24
	v_add_co_ci_u32_e64 v45, s2, v27, v25, s2
	s_clause 0x1
	global_load_b128 v[24:27], v[28:29], off offset:1440
	global_load_b128 v[28:31], v[28:29], off offset:3728
	v_add_co_u32 v48, s2, v44, s6
	s_delay_alu instid0(VALU_DEP_1) | instskip(SKIP_2) | instid1(VALU_DEP_1)
	v_add_co_ci_u32_e64 v49, s2, s5, v45, s2
	global_load_b128 v[32:35], v[32:33], off offset:1920
	v_add_co_u32 v52, s2, v48, s6
	v_add_co_ci_u32_e64 v53, s2, s5, v49, s2
	s_clause 0x1
	global_load_b128 v[36:39], v[40:41], off offset:112
	global_load_b128 v[40:43], v[40:41], off offset:2400
	v_add_co_u32 v56, s2, v52, s6
	s_delay_alu instid0(VALU_DEP_1) | instskip(SKIP_4) | instid1(VALU_DEP_1)
	v_add_co_ci_u32_e64 v57, s2, s5, v53, s2
	s_clause 0x1
	global_load_b128 v[44:47], v[44:45], off
	global_load_b128 v[48:51], v[48:49], off
	v_add_co_u32 v60, s2, v56, s6
	v_add_co_ci_u32_e64 v61, s2, s5, v57, s2
	global_load_b128 v[52:55], v[52:53], off
	v_add_co_u32 v64, s2, v60, s6
	s_delay_alu instid0(VALU_DEP_1) | instskip(SKIP_4) | instid1(VALU_DEP_1)
	v_add_co_ci_u32_e64 v65, s2, s5, v61, s2
	s_clause 0x1
	global_load_b128 v[56:59], v[56:57], off
	global_load_b128 v[60:63], v[60:61], off
	v_add_co_u32 v68, s2, v64, s6
	v_add_co_ci_u32_e64 v69, s2, s5, v65, s2
	global_load_b128 v[64:67], v[64:65], off
	v_add_co_u32 v72, s2, v68, s6
	s_delay_alu instid0(VALU_DEP_1) | instskip(SKIP_2) | instid1(VALU_DEP_1)
	v_add_co_ci_u32_e64 v73, s2, s5, v69, s2
	global_load_b128 v[68:71], v[68:69], off
	v_add_co_u32 v76, s2, v72, s6
	v_add_co_ci_u32_e64 v77, s2, s5, v73, s2
	global_load_b128 v[72:75], v[72:73], off
	v_add_co_u32 v80, s2, v76, s6
	s_delay_alu instid0(VALU_DEP_1) | instskip(SKIP_2) | instid1(VALU_DEP_1)
	v_add_co_ci_u32_e64 v81, s2, s5, v77, s2
	global_load_b128 v[76:79], v[76:77], off
	v_add_co_u32 v84, s2, v80, s6
	v_add_co_ci_u32_e64 v85, s2, s5, v81, s2
	global_load_b128 v[80:83], v[80:81], off
	v_add_co_u32 v88, s2, v84, s6
	s_delay_alu instid0(VALU_DEP_1) | instskip(NEXT) | instid1(VALU_DEP_2)
	v_add_co_ci_u32_e64 v89, s2, s5, v85, s2
	v_add_co_u32 v100, s2, v88, s6
	s_delay_alu instid0(VALU_DEP_1)
	v_add_co_ci_u32_e64 v101, s2, s5, v89, s2
	global_load_b128 v[84:87], v[84:85], off
	global_load_b128 v[88:91], v[88:89], off
	s_clause 0x1
	global_load_b128 v[92:95], v[96:97], off offset:592
	global_load_b128 v[96:99], v[96:97], off offset:2880
	global_load_b128 v[100:103], v[100:101], off
	s_waitcnt vmcnt(14)
	v_mul_f64 v[104:105], v[46:47], v[2:3]
	v_mul_f64 v[2:3], v[44:45], v[2:3]
	s_waitcnt vmcnt(13)
	v_mul_f64 v[106:107], v[50:51], v[6:7]
	v_mul_f64 v[6:7], v[48:49], v[6:7]
	s_waitcnt vmcnt(12)
	v_mul_f64 v[108:109], v[54:55], v[10:11]
	v_mul_f64 v[10:11], v[52:53], v[10:11]
	s_waitcnt vmcnt(11)
	v_mul_f64 v[110:111], v[58:59], v[14:15]
	v_mul_f64 v[14:15], v[56:57], v[14:15]
	s_waitcnt vmcnt(10)
	v_mul_f64 v[112:113], v[62:63], v[18:19]
	v_mul_f64 v[18:19], v[60:61], v[18:19]
	s_waitcnt vmcnt(9)
	v_mul_f64 v[114:115], v[66:67], v[22:23]
	v_mul_f64 v[22:23], v[64:65], v[22:23]
	s_waitcnt vmcnt(8)
	v_mul_f64 v[116:117], v[70:71], v[26:27]
	v_mul_f64 v[26:27], v[68:69], v[26:27]
	s_waitcnt vmcnt(7)
	v_mul_f64 v[118:119], v[74:75], v[30:31]
	v_mul_f64 v[30:31], v[72:73], v[30:31]
	s_waitcnt vmcnt(6)
	v_mul_f64 v[120:121], v[78:79], v[34:35]
	v_mul_f64 v[34:35], v[76:77], v[34:35]
	s_waitcnt vmcnt(5)
	v_mul_f64 v[122:123], v[82:83], v[38:39]
	v_mul_f64 v[38:39], v[80:81], v[38:39]
	s_waitcnt vmcnt(4)
	v_mul_f64 v[124:125], v[86:87], v[42:43]
	v_mul_f64 v[126:127], v[84:85], v[42:43]
	s_waitcnt vmcnt(2)
	v_mul_f64 v[128:129], v[90:91], v[94:95]
	v_mul_f64 v[94:95], v[88:89], v[94:95]
	s_waitcnt vmcnt(0)
	v_mul_f64 v[130:131], v[102:103], v[98:99]
	v_mul_f64 v[98:99], v[100:101], v[98:99]
	v_fma_f64 v[42:43], v[44:45], v[0:1], v[104:105]
	v_fma_f64 v[44:45], v[46:47], v[0:1], -v[2:3]
	v_fma_f64 v[0:1], v[48:49], v[4:5], v[106:107]
	v_fma_f64 v[2:3], v[50:51], v[4:5], -v[6:7]
	;; [unrolled: 2-line block ×13, first 2 shown]
	ds_store_b128 v245, v[42:45]
	ds_store_b128 v245, v[0:3] offset:2288
	ds_store_b128 v245, v[4:7] offset:4576
	;; [unrolled: 1-line block ×12, first 2 shown]
.LBB0_3:
	s_or_b32 exec_lo, exec_lo, s3
	s_clause 0x1
	s_load_b64 s[2:3], s[0:1], 0x20
	s_load_b64 s[0:1], s[0:1], 0x8
	s_waitcnt lgkmcnt(0)
	s_barrier
	buffer_gl0_inv
                                        ; implicit-def: $vgpr16_vgpr17
                                        ; implicit-def: $vgpr36_vgpr37
                                        ; implicit-def: $vgpr40_vgpr41
                                        ; implicit-def: $vgpr44_vgpr45
                                        ; implicit-def: $vgpr48_vgpr49
                                        ; implicit-def: $vgpr32_vgpr33
                                        ; implicit-def: $vgpr28_vgpr29
                                        ; implicit-def: $vgpr24_vgpr25
                                        ; implicit-def: $vgpr20_vgpr21
                                        ; implicit-def: $vgpr12_vgpr13
                                        ; implicit-def: $vgpr8_vgpr9
                                        ; implicit-def: $vgpr4_vgpr5
                                        ; implicit-def: $vgpr0_vgpr1
	s_and_saveexec_b32 s4, vcc_lo
	s_cbranch_execz .LBB0_5
; %bb.4:
	ds_load_b128 v[16:19], v245
	ds_load_b128 v[36:39], v245 offset:2288
	ds_load_b128 v[40:43], v245 offset:4576
	;; [unrolled: 1-line block ×12, first 2 shown]
.LBB0_5:
	s_or_b32 exec_lo, exec_lo, s4
	s_waitcnt lgkmcnt(0)
	v_add_f64 v[149:150], v[38:39], -v[2:3]
	v_add_f64 v[100:101], v[36:37], -v[0:1]
	s_mov_b32 s8, 0x4267c47c
	s_mov_b32 s6, 0x42a4c3d2
	s_mov_b32 s9, 0xbfddbe06
	s_mov_b32 s7, 0xbfea55e2
	v_add_f64 v[98:99], v[36:37], v[0:1]
	v_add_f64 v[153:154], v[38:39], v[2:3]
	v_add_f64 v[144:145], v[42:43], -v[6:7]
	v_add_f64 v[72:73], v[40:41], -v[4:5]
	s_mov_b32 s16, 0xe00740e9
	s_mov_b32 s4, 0x1ea71119
	s_mov_b32 s10, 0x2ef20147
	s_mov_b32 s17, 0x3fec55a7
	s_mov_b32 s5, 0x3fe22d96
	s_mov_b32 s11, 0xbfedeba7
	v_add_f64 v[74:75], v[40:41], v[4:5]
	v_add_f64 v[151:152], v[42:43], v[6:7]
	v_add_f64 v[136:137], v[46:47], -v[10:11]
	v_add_f64 v[116:117], v[44:45], -v[8:9]
	s_mov_b32 s18, 0xb2365da1
	s_mov_b32 s26, 0x66966769
	;; [unrolled: 10-line block ×3, first 2 shown]
	s_mov_b32 s22, 0x24c2f84
	s_mov_b32 s35, 0x3fbedb7d
	;; [unrolled: 1-line block ×4, first 2 shown]
	v_add_f64 v[66:67], v[48:49], v[12:13]
	v_add_f64 v[120:121], v[50:51], v[14:15]
	v_mul_f64 v[122:123], v[149:150], s[8:9]
	v_mul_f64 v[124:125], v[100:101], s[8:9]
	;; [unrolled: 1-line block ×4, first 2 shown]
	v_add_f64 v[64:65], v[32:33], -v[20:21]
	v_add_f64 v[132:133], v[34:35], -v[22:23]
	s_mov_b32 s28, 0xd0032e0c
	s_mov_b32 s29, 0xbfe7f3cc
	v_mul_f64 v[78:79], v[144:145], s[6:7]
	v_mul_f64 v[86:87], v[72:73], s[6:7]
	;; [unrolled: 1-line block ×4, first 2 shown]
	s_mov_b32 s31, 0xbfe5384d
	s_mov_b32 s39, 0x3fefc445
	;; [unrolled: 1-line block ×4, first 2 shown]
	v_add_f64 v[140:141], v[34:35], v[22:23]
	v_add_f64 v[142:143], v[30:31], -v[26:27]
	v_mul_f64 v[118:119], v[136:137], s[26:27]
	v_mul_f64 v[126:127], v[116:117], s[26:27]
	;; [unrolled: 1-line block ×4, first 2 shown]
	s_mov_b32 s37, 0x3fddbe06
	s_mov_b32 s36, s8
	v_mul_lo_u16 v255, v254, 13
	s_barrier
	buffer_gl0_inv
	v_mul_f64 v[102:103], v[52:53], s[10:11]
	v_mul_f64 v[94:95], v[112:113], s[10:11]
	;; [unrolled: 1-line block ×4, first 2 shown]
	v_fma_f64 v[54:55], v[98:99], s[16:17], v[122:123]
	v_fma_f64 v[56:57], v[153:154], s[16:17], -v[124:125]
	v_fma_f64 v[58:59], v[98:99], s[4:5], v[128:129]
	v_fma_f64 v[60:61], v[153:154], s[4:5], -v[130:131]
	v_mul_f64 v[96:97], v[64:65], s[30:31]
	v_mul_f64 v[92:93], v[132:133], s[30:31]
	;; [unrolled: 1-line block ×4, first 2 shown]
	v_fma_f64 v[62:63], v[74:75], s[4:5], v[78:79]
	v_fma_f64 v[68:69], v[151:152], s[4:5], -v[86:87]
	v_fma_f64 v[70:71], v[74:75], s[18:19], v[90:91]
	v_fma_f64 v[76:77], v[151:152], s[18:19], -v[108:109]
	;; [unrolled: 2-line block ×4, first 2 shown]
	v_fma_f64 v[159:160], v[120:121], s[18:19], -v[102:103]
	v_fma_f64 v[157:158], v[66:67], s[18:19], v[94:95]
	v_fma_f64 v[161:162], v[66:67], s[28:29], v[106:107]
	v_fma_f64 v[163:164], v[120:121], s[28:29], -v[114:115]
	v_add_f64 v[54:55], v[16:17], v[54:55]
	v_add_f64 v[56:57], v[18:19], v[56:57]
	v_add_f64 v[58:59], v[16:17], v[58:59]
	v_add_f64 v[60:61], v[18:19], v[60:61]
	v_fma_f64 v[167:168], v[140:141], s[28:29], -v[96:97]
	v_fma_f64 v[171:172], v[140:141], s[34:35], -v[110:111]
	v_add_f64 v[62:63], v[62:63], v[54:55]
	v_add_f64 v[56:57], v[68:69], v[56:57]
	;; [unrolled: 1-line block ×5, first 2 shown]
	v_add_f64 v[54:55], v[28:29], -v[24:25]
	v_add_f64 v[70:71], v[28:29], v[24:25]
	v_mul_f64 v[76:77], v[142:143], s[20:21]
	v_add_f64 v[62:63], v[80:81], v[62:63]
	v_add_f64 v[56:57], v[82:83], v[56:57]
	;; [unrolled: 1-line block ×5, first 2 shown]
	v_mul_f64 v[80:81], v[54:55], s[20:21]
	v_mul_f64 v[82:83], v[142:143], s[36:37]
	;; [unrolled: 1-line block ×3, first 2 shown]
	v_fma_f64 v[165:166], v[68:69], s[28:29], v[92:93]
	v_fma_f64 v[169:170], v[68:69], s[34:35], v[104:105]
	v_add_f64 v[62:63], v[157:158], v[62:63]
	v_add_f64 v[56:57], v[159:160], v[56:57]
	;; [unrolled: 1-line block ×4, first 2 shown]
	v_fma_f64 v[157:158], v[70:71], s[24:25], v[76:77]
	v_fma_f64 v[159:160], v[146:147], s[24:25], -v[80:81]
	v_fma_f64 v[161:162], v[70:71], s[16:17], v[82:83]
	v_fma_f64 v[163:164], v[146:147], s[16:17], -v[84:85]
	v_add_f64 v[62:63], v[165:166], v[62:63]
	v_add_f64 v[56:57], v[167:168], v[56:57]
	;; [unrolled: 1-line block ×4, first 2 shown]
	s_delay_alu instid0(VALU_DEP_4) | instskip(NEXT) | instid1(VALU_DEP_4)
	v_add_f64 v[60:61], v[157:158], v[62:63]
	v_add_f64 v[62:63], v[159:160], v[56:57]
	s_delay_alu instid0(VALU_DEP_4) | instskip(NEXT) | instid1(VALU_DEP_4)
	v_add_f64 v[56:57], v[161:162], v[58:59]
	v_add_f64 v[58:59], v[163:164], v[165:166]
	s_and_saveexec_b32 s33, vcc_lo
	s_cbranch_execz .LBB0_7
; %bb.6:
	v_add_f64 v[38:39], v[18:19], v[38:39]
	v_add_f64 v[36:37], v[16:17], v[36:37]
	v_mul_f64 v[169:170], v[153:154], s[24:25]
	v_mul_f64 v[171:172], v[149:150], s[20:21]
	;; [unrolled: 1-line block ×7, first 2 shown]
	s_mov_b32 s41, 0x3fedeba7
	s_mov_b32 s40, s10
	s_mov_b32 s45, 0x3fcea1e5
	s_mov_b32 s44, s20
	v_mul_f64 v[161:162], v[74:75], s[18:19]
	v_mul_f64 v[203:204], v[155:156], s[28:29]
	;; [unrolled: 1-line block ×14, first 2 shown]
	s_mov_b32 s43, 0x3fea55e2
	s_mov_b32 s42, s6
	v_mul_f64 v[165:166], v[88:89], s[24:25]
	v_mul_f64 v[209:210], v[136:137], s[30:31]
	;; [unrolled: 1-line block ×9, first 2 shown]
	v_add_f64 v[38:39], v[38:39], v[42:43]
	v_add_f64 v[36:37], v[36:37], v[40:41]
	v_mul_f64 v[40:41], v[98:99], s[16:17]
	v_mul_f64 v[42:43], v[153:154], s[16:17]
	v_fma_f64 v[233:234], v[100:101], s[44:45], v[169:170]
	v_fma_f64 v[235:236], v[98:99], s[24:25], v[171:172]
	;; [unrolled: 1-line block ×3, first 2 shown]
	v_fma_f64 v[171:172], v[98:99], s[24:25], -v[171:172]
	v_fma_f64 v[237:238], v[100:101], s[22:23], v[177:178]
	v_fma_f64 v[239:240], v[98:99], s[28:29], v[179:180]
	v_fma_f64 v[179:180], v[98:99], s[28:29], -v[179:180]
	v_fma_f64 v[241:242], v[100:101], s[40:41], v[185:186]
	v_fma_f64 v[243:244], v[98:99], s[18:19], v[187:188]
	v_fma_f64 v[185:186], v[100:101], s[10:11], v[185:186]
	v_fma_f64 v[187:188], v[98:99], s[18:19], -v[187:188]
	v_fma_f64 v[250:251], v[98:99], s[34:35], v[149:150]
	v_fma_f64 v[177:178], v[100:101], s[30:31], v[177:178]
	v_add_f64 v[90:91], v[161:162], -v[90:91]
	v_mul_f64 v[161:162], v[120:121], s[34:35]
	v_mul_f64 v[195:196], v[140:141], s[34:35]
	v_add_f64 v[86:87], v[86:87], v[159:160]
	v_add_f64 v[126:127], v[126:127], v[163:164]
	v_add_f64 v[138:139], v[138:139], v[167:168]
	v_mul_f64 v[191:192], v[140:141], s[28:29]
	v_mul_f64 v[227:228], v[140:141], s[18:19]
	;; [unrolled: 1-line block ×3, first 2 shown]
	v_add_f64 v[78:79], v[157:158], -v[78:79]
	v_mul_f64 v[201:202], v[70:71], s[16:17]
	v_mul_f64 v[223:224], v[146:147], s[16:17]
	v_add_f64 v[134:135], v[165:166], -v[134:135]
	v_fma_f64 v[163:164], v[88:89], s[28:29], v[209:210]
	v_fma_f64 v[209:210], v[88:89], s[28:29], -v[209:210]
	v_add_f64 v[94:95], v[173:174], -v[94:95]
	v_add_f64 v[102:103], v[102:103], v[175:176]
	v_add_f64 v[106:107], v[181:182], -v[106:107]
	v_add_f64 v[114:115], v[114:115], v[183:184]
	v_mul_f64 v[167:168], v[142:143], s[10:11]
	v_mul_f64 v[165:166], v[146:147], s[4:5]
	v_add_f64 v[38:39], v[38:39], v[46:47]
	v_add_f64 v[36:37], v[36:37], v[44:45]
	v_mul_f64 v[44:45], v[98:99], s[4:5]
	v_mul_f64 v[46:47], v[153:154], s[4:5]
	;; [unrolled: 1-line block ×3, first 2 shown]
	v_fma_f64 v[98:99], v[98:99], s[34:35], -v[149:150]
	v_add_f64 v[40:41], v[40:41], -v[122:123]
	v_add_f64 v[42:43], v[124:125], v[42:43]
	v_fma_f64 v[149:150], v[116:117], s[30:31], v[203:204]
	v_add_f64 v[233:234], v[18:19], v[233:234]
	v_add_f64 v[235:236], v[16:17], v[235:236]
	;; [unrolled: 1-line block ×13, first 2 shown]
	v_mul_f64 v[122:123], v[132:133], s[10:11]
	v_add_f64 v[110:111], v[110:111], v[195:196]
	v_add_f64 v[104:105], v[193:194], -v[104:105]
	v_mul_f64 v[199:200], v[146:147], s[24:25]
	v_mul_f64 v[225:226], v[146:147], s[34:35]
	;; [unrolled: 1-line block ×6, first 2 shown]
	v_add_f64 v[96:97], v[96:97], v[191:192]
	v_add_f64 v[92:93], v[189:190], -v[92:93]
	v_add_f64 v[84:85], v[84:85], v[223:224]
	v_add_f64 v[82:83], v[201:202], -v[82:83]
	v_add_f64 v[38:39], v[38:39], v[50:51]
	v_add_f64 v[36:37], v[36:37], v[48:49]
	v_mul_f64 v[48:49], v[151:152], s[18:19]
	v_add_f64 v[46:47], v[130:131], v[46:47]
	v_add_f64 v[44:45], v[44:45], -v[128:129]
	v_mul_f64 v[151:152], v[151:152], s[24:25]
	v_fma_f64 v[248:249], v[100:101], s[38:39], v[153:154]
	v_fma_f64 v[100:101], v[100:101], s[26:27], v[153:154]
	v_mul_f64 v[50:51], v[88:89], s[34:35]
	v_fma_f64 v[128:129], v[116:117], s[22:23], v[203:204]
	v_fma_f64 v[130:131], v[72:73], s[8:9], v[205:206]
	;; [unrolled: 1-line block ×3, first 2 shown]
	v_fma_f64 v[203:204], v[74:75], s[16:17], -v[207:208]
	v_add_f64 v[98:99], v[16:17], v[98:99]
	v_fma_f64 v[205:206], v[116:117], s[42:43], v[211:212]
	v_fma_f64 v[211:212], v[116:117], s[6:7], v[211:212]
	v_add_f64 v[80:81], v[80:81], v[199:200]
	v_add_f64 v[76:77], v[197:198], -v[76:77]
	v_add_f64 v[34:35], v[38:39], v[34:35]
	v_add_f64 v[32:33], v[36:37], v[32:33]
	v_mul_f64 v[38:39], v[144:145], s[38:39]
	v_mul_f64 v[144:145], v[144:145], s[20:21]
	;; [unrolled: 1-line block ×3, first 2 shown]
	v_add_f64 v[46:47], v[18:19], v[46:47]
	v_add_f64 v[44:45], v[16:17], v[44:45]
	v_add_f64 v[16:17], v[16:17], v[40:41]
	v_fma_f64 v[40:41], v[116:117], s[8:9], v[215:216]
	v_add_f64 v[48:49], v[108:109], v[48:49]
	v_add_f64 v[248:249], v[18:19], v[248:249]
	;; [unrolled: 1-line block ×4, first 2 shown]
	v_fma_f64 v[42:43], v[72:73], s[30:31], v[217:218]
	v_add_f64 v[50:51], v[50:51], -v[118:119]
	v_fma_f64 v[118:119], v[88:89], s[16:17], v[219:220]
	v_fma_f64 v[219:220], v[88:89], s[16:17], -v[219:220]
	v_add_f64 v[130:131], v[130:131], v[233:234]
	v_add_f64 v[153:154], v[153:154], v[169:170]
	;; [unrolled: 1-line block ×3, first 2 shown]
	v_mul_f64 v[108:109], v[132:133], s[36:37]
	v_mul_f64 v[233:234], v[140:141], s[24:25]
	;; [unrolled: 1-line block ×6, first 2 shown]
	v_add_f64 v[30:31], v[34:35], v[30:31]
	v_add_f64 v[28:29], v[32:33], v[28:29]
	v_mul_f64 v[34:35], v[136:137], s[40:41]
	v_fma_f64 v[136:137], v[74:75], s[16:17], v[207:208]
	v_fma_f64 v[207:208], v[72:73], s[26:27], v[213:214]
	;; [unrolled: 1-line block ×4, first 2 shown]
	v_fma_f64 v[38:39], v[74:75], s[34:35], -v[38:39]
	v_fma_f64 v[159:160], v[88:89], s[4:5], v[36:37]
	v_fma_f64 v[36:37], v[88:89], s[4:5], -v[36:37]
	v_add_f64 v[46:47], v[48:49], v[46:47]
	v_add_f64 v[44:45], v[90:91], v[44:45]
	;; [unrolled: 1-line block ×5, first 2 shown]
	v_fma_f64 v[78:79], v[52:53], s[26:27], v[161:162]
	v_mul_f64 v[32:33], v[140:141], s[16:17]
	v_mul_f64 v[140:141], v[140:141], s[4:5]
	v_fma_f64 v[48:49], v[68:69], s[18:19], v[122:123]
	v_fma_f64 v[122:123], v[68:69], s[18:19], -v[122:123]
	v_add_f64 v[26:27], v[30:31], v[26:27]
	v_fma_f64 v[30:31], v[116:117], s[36:37], v[215:216]
	v_fma_f64 v[215:216], v[72:73], s[22:23], v[217:218]
	v_add_f64 v[24:25], v[28:29], v[24:25]
	v_fma_f64 v[28:29], v[74:75], s[28:29], v[221:222]
	v_fma_f64 v[217:218], v[74:75], s[28:29], -v[221:222]
	v_fma_f64 v[221:222], v[116:117], s[10:11], v[155:156]
	v_fma_f64 v[116:117], v[116:117], s[40:41], v[155:156]
	;; [unrolled: 1-line block ×5, first 2 shown]
	v_fma_f64 v[74:75], v[74:75], s[24:25], -v[144:145]
	v_mul_f64 v[144:145], v[120:121], s[24:25]
	v_fma_f64 v[157:158], v[88:89], s[18:19], v[34:35]
	v_fma_f64 v[34:35], v[88:89], s[18:19], -v[34:35]
	v_mul_f64 v[88:89], v[112:113], s[26:27]
	v_mul_f64 v[120:121], v[120:121], s[16:17]
	v_add_f64 v[136:137], v[136:137], v[235:236]
	v_mul_f64 v[235:236], v[112:113], s[36:37]
	v_add_f64 v[207:208], v[207:208], v[237:238]
	v_mul_f64 v[237:238], v[112:113], s[42:43]
	v_mul_f64 v[112:113], v[112:113], s[44:45]
	v_add_f64 v[239:240], v[252:253], v[239:240]
	v_add_f64 v[177:178], v[213:214], v[177:178]
	;; [unrolled: 1-line block ×7, first 2 shown]
	v_fma_f64 v[50:51], v[68:69], s[16:17], -v[108:109]
	v_fma_f64 v[126:127], v[68:69], s[4:5], -v[203:204]
	v_fma_f64 v[134:135], v[68:69], s[24:25], v[132:133]
	v_fma_f64 v[213:214], v[64:65], s[40:41], v[227:228]
	v_fma_f64 v[227:228], v[64:65], s[10:11], v[227:228]
	v_fma_f64 v[252:253], v[54:55], s[26:27], v[225:226]
	v_fma_f64 v[225:226], v[54:55], s[38:39], v[225:226]
	v_add_f64 v[22:23], v[26:27], v[22:23]
	v_add_f64 v[185:186], v[215:216], v[185:186]
	;; [unrolled: 1-line block ×4, first 2 shown]
	v_fma_f64 v[215:216], v[52:53], s[6:7], v[229:230]
	v_fma_f64 v[229:230], v[52:53], s[42:43], v[229:230]
	;; [unrolled: 1-line block ×3, first 2 shown]
	v_add_f64 v[155:156], v[155:156], v[248:249]
	v_add_f64 v[72:73], v[72:73], v[100:101]
	;; [unrolled: 1-line block ×5, first 2 shown]
	v_fma_f64 v[90:91], v[52:53], s[20:21], v[144:145]
	v_fma_f64 v[144:145], v[52:53], s[44:45], v[144:145]
	;; [unrolled: 1-line block ×3, first 2 shown]
	v_fma_f64 v[86:87], v[66:67], s[34:35], -v[88:89]
	v_fma_f64 v[88:89], v[52:53], s[8:9], v[120:121]
	v_fma_f64 v[52:53], v[52:53], s[36:37], v[120:121]
	;; [unrolled: 1-line block ×3, first 2 shown]
	v_fma_f64 v[161:162], v[66:67], s[16:17], -v[235:236]
	v_fma_f64 v[173:174], v[66:67], s[4:5], v[237:238]
	v_fma_f64 v[175:176], v[66:67], s[4:5], -v[237:238]
	v_fma_f64 v[179:180], v[66:67], s[24:25], v[112:113]
	v_fma_f64 v[66:67], v[66:67], s[24:25], -v[112:113]
	v_add_f64 v[112:113], v[128:129], v[130:131]
	v_add_f64 v[128:129], v[163:164], v[136:137]
	v_add_f64 v[130:131], v[149:150], v[153:154]
	v_add_f64 v[136:137], v[209:210], v[171:172]
	v_add_f64 v[153:154], v[159:160], v[239:240]
	v_add_f64 v[149:150], v[205:206], v[207:208]
	v_add_f64 v[159:160], v[211:212], v[177:178]
	v_add_f64 v[36:37], v[36:37], v[38:39]
	v_add_f64 v[38:39], v[40:41], v[42:43]
	v_add_f64 v[46:47], v[114:115], v[46:47]
	v_add_f64 v[44:45], v[106:107], v[44:45]
	v_add_f64 v[18:19], v[102:103], v[18:19]
	v_fma_f64 v[100:101], v[70:71], s[34:35], v[231:232]
	v_add_f64 v[14:15], v[22:23], v[14:15]
	v_fma_f64 v[22:23], v[68:69], s[16:17], v[108:109]
	v_add_f64 v[30:31], v[30:31], v[185:186]
	v_add_f64 v[12:13], v[20:21], v[12:13]
	;; [unrolled: 1-line block ×3, first 2 shown]
	v_fma_f64 v[108:109], v[64:65], s[44:45], v[233:234]
	v_fma_f64 v[118:119], v[68:69], s[4:5], v[203:204]
	v_fma_f64 v[68:69], v[68:69], s[24:25], -v[132:133]
	v_add_f64 v[40:41], v[221:222], v[155:156]
	v_add_f64 v[72:73], v[116:117], v[72:73]
	;; [unrolled: 1-line block ×5, first 2 shown]
	v_fma_f64 v[20:21], v[64:65], s[8:9], v[32:33]
	v_fma_f64 v[32:33], v[64:65], s[36:37], v[32:33]
	v_fma_f64 v[98:99], v[64:65], s[20:21], v[233:234]
	v_fma_f64 v[116:117], v[64:65], s[42:43], v[140:141]
	v_fma_f64 v[64:65], v[64:65], s[6:7], v[140:141]
	v_fma_f64 v[231:232], v[70:71], s[34:35], -v[231:232]
	v_add_f64 v[112:113], v[215:216], v[112:113]
	v_add_f64 v[128:129], v[173:174], v[128:129]
	;; [unrolled: 1-line block ×11, first 2 shown]
	v_fma_f64 v[66:67], v[54:55], s[6:7], v[165:166]
	v_add_f64 v[96:97], v[96:97], v[18:19]
	v_add_f64 v[10:11], v[14:15], v[10:11]
	v_fma_f64 v[14:15], v[54:55], s[40:41], v[124:125]
	v_add_f64 v[30:31], v[78:79], v[30:31]
	v_add_f64 v[8:9], v[12:13], v[8:9]
	;; [unrolled: 1-line block ×4, first 2 shown]
	v_fma_f64 v[16:17], v[70:71], s[18:19], v[167:168]
	v_fma_f64 v[78:79], v[54:55], s[22:23], v[146:147]
	v_add_f64 v[28:29], v[88:89], v[40:41]
	v_add_f64 v[52:53], v[52:53], v[72:73]
	v_add_f64 v[38:39], v[120:121], v[42:43]
	v_add_f64 v[34:35], v[161:162], v[34:35]
	v_add_f64 v[72:73], v[86:87], v[74:75]
	v_fma_f64 v[74:75], v[54:55], s[42:43], v[165:166]
	v_fma_f64 v[40:41], v[54:55], s[10:11], v[124:125]
	;; [unrolled: 1-line block ×3, first 2 shown]
	v_fma_f64 v[88:89], v[70:71], s[28:29], -v[169:170]
	v_fma_f64 v[42:43], v[70:71], s[18:19], -v[167:168]
	v_fma_f64 v[86:87], v[70:71], s[28:29], v[169:170]
	v_fma_f64 v[94:95], v[70:71], s[4:5], v[142:143]
	v_fma_f64 v[70:71], v[70:71], s[4:5], -v[142:143]
	v_add_f64 v[102:103], v[213:214], v[112:113]
	v_add_f64 v[48:49], v[48:49], v[128:129]
	;; [unrolled: 1-line block ×20, first 2 shown]
	v_and_b32_e32 v44, 0xffff, v255
	s_delay_alu instid0(VALU_DEP_1)
	v_lshlrev_b32_e32 v44, 4, v44
	v_add_f64 v[6:7], v[252:253], v[102:103]
	v_add_f64 v[4:5], v[100:101], v[48:49]
	;; [unrolled: 1-line block ×21, first 2 shown]
	ds_store_b128 v44, v[28:31] offset:32
	ds_store_b128 v44, v[24:27] offset:48
	;; [unrolled: 1-line block ×10, first 2 shown]
	ds_store_b128 v44, v[0:3]
	ds_store_b128 v44, v[40:43] offset:16
	ds_store_b128 v44, v[60:63] offset:192
.LBB0_7:
	s_or_b32 exec_lo, exec_lo, s33
	v_and_b32_e32 v0, 0xff, v254
	s_load_b128 s[4:7], s[2:3], 0x0
	s_waitcnt lgkmcnt(0)
	s_barrier
	buffer_gl0_inv
	v_mul_lo_u16 v0, 0x4f, v0
	s_mov_b32 s24, 0xf8bb580b
	s_mov_b32 s22, 0x43842ef
	;; [unrolled: 1-line block ×4, first 2 shown]
	v_lshrrev_b16 v104, 10, v0
	s_mov_b32 s25, 0xbfe14ced
	s_mov_b32 s21, 0xbfed1bb4
	;; [unrolled: 1-line block ×4, first 2 shown]
	v_mul_lo_u16 v0, v104, 13
	s_mov_b32 s27, 0xbfe82f19
	s_mov_b32 s29, 0xbfd207e7
	;; [unrolled: 1-line block ×4, first 2 shown]
	v_sub_nc_u16 v0, v254, v0
	s_mov_b32 s10, 0x640f44db
	s_mov_b32 s16, 0x7f775887
	;; [unrolled: 1-line block ×4, first 2 shown]
	v_and_b32_e32 v105, 0xff, v0
	s_mov_b32 s9, 0x3fda9628
	s_mov_b32 s11, 0xbfc2375f
	;; [unrolled: 1-line block ×4, first 2 shown]
	v_mul_u32_u24_e32 v0, 10, v105
	s_mov_b32 s35, 0x3fd207e7
	s_mov_b32 s37, 0x3fefac9e
	;; [unrolled: 1-line block ×4, first 2 shown]
	v_lshlrev_b32_e32 v4, 4, v0
	s_mov_b32 s36, s22
	s_mov_b32 s30, s24
	s_clause 0x9
	global_load_b128 v[0:3], v4, s[0:1]
	global_load_b128 v[28:31], v4, s[0:1] offset:144
	global_load_b128 v[36:39], v4, s[0:1] offset:16
	;; [unrolled: 1-line block ×9, first 2 shown]
	ds_load_b128 v[44:47], v245 offset:2704
	ds_load_b128 v[40:43], v245
	ds_load_b128 v[48:51], v245 offset:27040
	ds_load_b128 v[52:55], v245 offset:5408
	;; [unrolled: 1-line block ×9, first 2 shown]
	s_waitcnt vmcnt(0) lgkmcnt(0)
	s_barrier
	buffer_gl0_inv
	v_mul_f64 v[92:93], v[46:47], v[2:3]
	v_mul_f64 v[94:95], v[44:45], v[2:3]
	;; [unrolled: 1-line block ×20, first 2 shown]
	v_fma_f64 v[92:93], v[44:45], v[0:1], -v[92:93]
	v_fma_f64 v[94:95], v[46:47], v[0:1], v[94:95]
	v_fma_f64 v[44:45], v[50:51], v[28:29], v[96:97]
	v_fma_f64 v[46:47], v[48:49], v[28:29], -v[98:99]
	v_fma_f64 v[96:97], v[52:53], v[36:37], -v[100:101]
	v_fma_f64 v[98:99], v[54:55], v[36:37], v[102:103]
	v_fma_f64 v[68:69], v[68:69], v[32:33], -v[110:111]
	v_fma_f64 v[70:71], v[70:71], v[32:33], v[112:113]
	v_fma_f64 v[52:53], v[74:75], v[20:21], v[114:115]
	v_fma_f64 v[54:55], v[72:73], v[20:21], -v[116:117]
	v_fma_f64 v[48:49], v[66:67], v[24:25], v[106:107]
	v_fma_f64 v[50:51], v[64:65], v[24:25], -v[108:109]
	v_fma_f64 v[72:73], v[80:81], v[16:17], -v[118:119]
	v_fma_f64 v[74:75], v[82:83], v[16:17], v[120:121]
	v_fma_f64 v[64:65], v[76:77], v[12:13], -v[122:123]
	v_fma_f64 v[66:67], v[78:79], v[12:13], v[124:125]
	v_fma_f64 v[76:77], v[84:85], v[8:9], -v[126:127]
	v_fma_f64 v[78:79], v[86:87], v[8:9], v[128:129]
	v_fma_f64 v[80:81], v[88:89], v[4:5], -v[130:131]
	v_fma_f64 v[82:83], v[90:91], v[4:5], v[132:133]
	v_add_f64 v[100:101], v[40:41], v[92:93]
	v_add_f64 v[102:103], v[42:43], v[94:95]
	v_add_f64 v[84:85], v[94:95], -v[44:45]
	v_add_f64 v[86:87], v[92:93], -v[46:47]
	v_add_f64 v[92:93], v[92:93], v[46:47]
	v_add_f64 v[94:95], v[94:95], v[44:45]
	v_add_f64 v[106:107], v[70:71], -v[52:53]
	v_add_f64 v[108:109], v[68:69], -v[54:55]
	;; [unrolled: 4-line block ×3, first 2 shown]
	v_add_f64 v[114:115], v[72:73], v[64:65]
	v_add_f64 v[116:117], v[74:75], -v[66:67]
	v_add_f64 v[118:119], v[72:73], -v[64:65]
	v_add_f64 v[120:121], v[74:75], v[66:67]
	v_add_f64 v[126:127], v[76:77], -v[80:81]
	v_add_f64 v[122:123], v[76:77], v[80:81]
	v_add_f64 v[124:125], v[78:79], v[82:83]
	v_add_f64 v[128:129], v[78:79], -v[82:83]
	v_add_f64 v[100:101], v[100:101], v[96:97]
	v_add_f64 v[102:103], v[102:103], v[98:99]
	v_mul_f64 v[130:131], v[84:85], s[24:25]
	v_mul_f64 v[132:133], v[86:87], s[24:25]
	;; [unrolled: 1-line block ×12, first 2 shown]
	s_mov_b32 s21, 0x3fed1bb4
	v_add_f64 v[96:97], v[96:97], v[50:51]
	v_add_f64 v[98:99], v[98:99], v[48:49]
	v_mul_f64 v[151:152], v[88:89], s[26:27]
	v_mul_f64 v[153:154], v[90:91], s[26:27]
	v_mul_f64 v[155:156], v[88:89], s[36:37]
	v_mul_f64 v[157:158], v[90:91], s[36:37]
	v_mul_f64 v[193:194], v[126:127], s[28:29]
	v_mul_f64 v[197:198], v[126:127], s[30:31]
	v_mul_f64 v[201:202], v[126:127], s[26:27]
	v_mul_f64 v[205:206], v[126:127], s[22:23]
	v_mul_f64 v[159:160], v[106:107], s[22:23]
	v_mul_f64 v[161:162], v[108:109], s[22:23]
	v_mul_f64 v[163:164], v[106:107], s[34:35]
	v_mul_f64 v[165:166], v[108:109], s[34:35]
	v_mul_f64 v[167:168], v[106:107], s[24:25]
	v_mul_f64 v[169:170], v[108:109], s[24:25]
	v_mul_f64 v[171:172], v[106:107], s[26:27]
	v_mul_f64 v[173:174], v[108:109], s[26:27]
	v_mul_f64 v[106:107], v[106:107], s[20:21]
	v_mul_f64 v[108:109], v[108:109], s[20:21]
	v_mul_f64 v[175:176], v[116:117], s[26:27]
	v_mul_f64 v[177:178], v[118:119], s[26:27]
	v_mul_f64 v[179:180], v[116:117], s[36:37]
	v_add_f64 v[68:69], v[100:101], v[68:69]
	v_add_f64 v[70:71], v[102:103], v[70:71]
	v_mul_f64 v[100:101], v[88:89], s[34:35]
	v_mul_f64 v[102:103], v[90:91], s[34:35]
	;; [unrolled: 1-line block ×4, first 2 shown]
	v_fma_f64 v[207:208], v[92:93], s[8:9], -v[134:135]
	v_fma_f64 v[209:210], v[94:95], s[8:9], v[136:137]
	v_fma_f64 v[134:135], v[92:93], s[8:9], v[134:135]
	v_fma_f64 v[136:137], v[94:95], s[8:9], -v[136:137]
	v_fma_f64 v[211:212], v[92:93], s[10:11], -v[138:139]
	v_fma_f64 v[213:214], v[94:95], s[10:11], v[140:141]
	v_fma_f64 v[138:139], v[92:93], s[10:11], v[138:139]
	v_fma_f64 v[140:141], v[94:95], s[10:11], -v[140:141]
	;; [unrolled: 4-line block ×5, first 2 shown]
	v_fma_f64 v[231:232], v[96:97], s[10:11], -v[155:156]
	v_fma_f64 v[233:234], v[98:99], s[10:11], v[157:158]
	v_fma_f64 v[155:156], v[96:97], s[10:11], v[155:156]
	v_mul_f64 v[181:182], v[118:119], s[36:37]
	v_mul_f64 v[183:184], v[116:117], s[24:25]
	;; [unrolled: 1-line block ×8, first 2 shown]
	v_fma_f64 v[235:236], v[110:111], s[18:19], -v[163:164]
	v_add_f64 v[68:69], v[68:69], v[72:73]
	v_add_f64 v[70:71], v[70:71], v[74:75]
	v_mul_f64 v[72:73], v[126:127], s[20:21]
	v_fma_f64 v[74:75], v[92:93], s[2:3], -v[130:131]
	v_fma_f64 v[126:127], v[94:95], s[2:3], v[132:133]
	v_fma_f64 v[130:131], v[92:93], s[2:3], v[130:131]
	v_fma_f64 v[132:133], v[94:95], s[2:3], -v[132:133]
	v_fma_f64 v[92:93], v[96:97], s[8:9], -v[146:147]
	v_fma_f64 v[94:95], v[98:99], s[8:9], v[149:150]
	v_fma_f64 v[146:147], v[96:97], s[8:9], v[146:147]
	v_fma_f64 v[149:150], v[98:99], s[8:9], -v[149:150]
	;; [unrolled: 4-line block ×3, first 2 shown]
	v_add_f64 v[207:208], v[40:41], v[207:208]
	v_add_f64 v[209:210], v[42:43], v[209:210]
	;; [unrolled: 1-line block ×13, first 2 shown]
	v_fma_f64 v[237:238], v[112:113], s[18:19], v[165:166]
	v_fma_f64 v[163:164], v[110:111], s[18:19], v[163:164]
	v_fma_f64 v[165:166], v[112:113], s[18:19], -v[165:166]
	v_fma_f64 v[239:240], v[110:111], s[2:3], -v[167:168]
	v_fma_f64 v[241:242], v[112:113], s[2:3], v[169:170]
	v_fma_f64 v[167:168], v[110:111], s[2:3], v[167:168]
	v_fma_f64 v[169:170], v[112:113], s[2:3], -v[169:170]
	v_fma_f64 v[250:251], v[110:111], s[8:9], -v[106:107]
	v_fma_f64 v[106:107], v[110:111], s[8:9], v[106:107]
	v_mul_f64 v[195:196], v[128:129], s[30:31]
	v_add_f64 v[68:69], v[68:69], v[76:77]
	v_add_f64 v[70:71], v[70:71], v[78:79]
	v_fma_f64 v[76:77], v[98:99], s[10:11], -v[157:158]
	v_fma_f64 v[78:79], v[96:97], s[2:3], -v[88:89]
	v_fma_f64 v[157:158], v[98:99], s[2:3], v[90:91]
	v_fma_f64 v[88:89], v[96:97], s[2:3], v[88:89]
	v_fma_f64 v[90:91], v[98:99], s[2:3], -v[90:91]
	v_add_f64 v[74:75], v[40:41], v[74:75]
	v_add_f64 v[130:131], v[40:41], v[130:131]
	;; [unrolled: 1-line block ×7, first 2 shown]
	v_fma_f64 v[96:97], v[110:111], s[10:11], -v[159:160]
	v_fma_f64 v[98:99], v[112:113], s[10:11], v[161:162]
	v_fma_f64 v[159:160], v[110:111], s[10:11], v[159:160]
	v_fma_f64 v[161:162], v[112:113], s[10:11], -v[161:162]
	v_fma_f64 v[126:127], v[110:111], s[16:17], v[171:172]
	v_fma_f64 v[144:145], v[112:113], s[16:17], -v[173:174]
	v_add_f64 v[134:135], v[151:152], v[134:135]
	v_add_f64 v[100:101], v[100:101], v[138:139]
	;; [unrolled: 1-line block ×5, first 2 shown]
	v_mul_f64 v[199:200], v[128:129], s[26:27]
	v_mul_f64 v[203:204], v[128:129], s[22:23]
	;; [unrolled: 1-line block ×3, first 2 shown]
	v_fma_f64 v[243:244], v[114:115], s[10:11], -v[179:180]
	v_fma_f64 v[248:249], v[120:121], s[10:11], v[181:182]
	v_fma_f64 v[179:180], v[114:115], s[10:11], v[179:180]
	v_fma_f64 v[181:182], v[120:121], s[10:11], -v[181:182]
	v_add_f64 v[68:69], v[68:69], v[80:81]
	v_add_f64 v[70:71], v[70:71], v[82:83]
	v_fma_f64 v[80:81], v[110:111], s[16:17], -v[171:172]
	v_fma_f64 v[82:83], v[112:113], s[16:17], v[173:174]
	v_fma_f64 v[110:111], v[112:113], s[8:9], v[108:109]
	v_fma_f64 v[108:109], v[112:113], s[8:9], -v[108:109]
	v_add_f64 v[78:79], v[78:79], v[219:220]
	v_add_f64 v[74:75], v[92:93], v[74:75]
	;; [unrolled: 1-line block ×15, first 2 shown]
	v_fma_f64 v[171:172], v[114:115], s[16:17], -v[175:176]
	v_fma_f64 v[173:174], v[120:121], s[16:17], v[177:178]
	v_fma_f64 v[175:176], v[114:115], s[16:17], v[175:176]
	v_fma_f64 v[177:178], v[120:121], s[16:17], -v[177:178]
	v_fma_f64 v[90:91], v[114:115], s[2:3], v[183:184]
	v_fma_f64 v[94:95], v[120:121], s[2:3], -v[185:186]
	v_fma_f64 v[102:103], v[114:115], s[18:19], -v[187:188]
	v_fma_f64 v[136:137], v[120:121], s[18:19], v[189:190]
	v_fma_f64 v[140:141], v[114:115], s[18:19], v[187:188]
	v_fma_f64 v[153:154], v[120:121], s[18:19], -v[189:190]
	v_fma_f64 v[157:158], v[122:123], s[18:19], -v[191:192]
	;; [unrolled: 1-line block ×3, first 2 shown]
	v_add_f64 v[100:101], v[106:107], v[100:101]
	v_add_f64 v[106:107], v[239:240], v[138:139]
	v_fma_f64 v[187:188], v[124:125], s[18:19], -v[193:194]
	v_fma_f64 v[138:139], v[122:123], s[16:17], v[199:200]
	v_add_f64 v[64:65], v[68:69], v[64:65]
	v_add_f64 v[66:67], v[70:71], v[66:67]
	v_fma_f64 v[68:69], v[114:115], s[2:3], -v[183:184]
	v_fma_f64 v[70:71], v[120:121], s[2:3], v[185:186]
	v_fma_f64 v[185:186], v[122:123], s[18:19], v[191:192]
	;; [unrolled: 1-line block ×4, first 2 shown]
	v_fma_f64 v[116:117], v[120:121], s[8:9], -v[118:119]
	v_add_f64 v[74:75], v[96:97], v[74:75]
	v_add_f64 v[92:93], v[159:160], v[92:93]
	;; [unrolled: 1-line block ×18, first 2 shown]
	v_fma_f64 v[183:184], v[124:125], s[18:19], v[193:194]
	v_fma_f64 v[88:89], v[122:123], s[2:3], v[195:196]
	v_fma_f64 v[108:109], v[124:125], s[2:3], -v[197:198]
	v_fma_f64 v[98:99], v[122:123], s[16:17], -v[199:200]
	v_fma_f64 v[126:127], v[124:125], s[16:17], v[201:202]
	v_fma_f64 v[142:143], v[124:125], s[16:17], -v[201:202]
	v_fma_f64 v[144:145], v[122:123], s[10:11], -v[203:204]
	v_fma_f64 v[146:147], v[124:125], s[10:11], v[205:206]
	v_fma_f64 v[149:150], v[122:123], s[10:11], v[203:204]
	v_fma_f64 v[151:152], v[124:125], s[10:11], -v[205:206]
	v_fma_f64 v[155:156], v[122:123], s[8:9], -v[128:129]
	v_fma_f64 v[159:160], v[124:125], s[8:9], v[72:73]
	v_add_f64 v[54:55], v[64:65], v[54:55]
	v_add_f64 v[52:53], v[66:67], v[52:53]
	v_fma_f64 v[64:65], v[122:123], s[2:3], -v[195:196]
	v_fma_f64 v[66:67], v[124:125], s[2:3], v[197:198]
	v_fma_f64 v[122:123], v[122:123], s[8:9], v[128:129]
	v_fma_f64 v[124:125], v[124:125], s[8:9], -v[72:73]
	v_add_f64 v[90:91], v[90:91], v[100:101]
	v_add_f64 v[106:107], v[102:103], v[106:107]
	v_add_f64 v[72:73], v[171:172], v[74:75]
	v_add_f64 v[74:75], v[175:176], v[92:93]
	v_add_f64 v[92:93], v[177:178], v[96:97]
	v_add_f64 v[96:97], v[243:244], v[112:113]
	v_add_f64 v[112:113], v[248:249], v[118:119]
	v_add_f64 v[118:119], v[179:180], v[120:121]
	v_add_f64 v[120:121], v[68:69], v[130:131]
	v_add_f64 v[110:111], v[70:71], v[110:111]
	v_add_f64 v[128:129], v[136:137], v[132:133]
	v_add_f64 v[130:131], v[140:141], v[134:135]
	v_add_f64 v[78:79], v[189:190], v[78:79]
	v_add_f64 v[132:133], v[191:192], v[80:81]
	v_add_f64 v[40:41], v[114:115], v[40:41]
	v_add_f64 v[114:115], v[116:117], v[82:83]
	v_add_f64 v[116:117], v[153:154], v[76:77]
	v_add_f64 v[134:135], v[94:95], v[84:85]
	v_add_f64 v[136:137], v[181:182], v[86:87]
	v_add_f64 v[42:43], v[173:174], v[42:43]
	v_add_f64 v[50:51], v[54:55], v[50:51]
	v_add_f64 v[52:53], v[52:53], v[48:49]
	v_add_f64 v[48:49], v[157:158], v[72:73]
	v_add_f64 v[100:101], v[185:186], v[74:75]
	v_add_f64 v[102:103], v[187:188], v[92:93]
	v_add_f64 v[68:69], v[64:65], v[96:97]
	v_add_f64 v[70:71], v[66:67], v[112:113]
	v_add_f64 v[76:77], v[88:89], v[118:119]
	v_add_f64 v[64:65], v[98:99], v[120:121]
	v_add_f64 v[66:67], v[126:127], v[110:111]
	v_add_f64 v[96:97], v[138:139], v[90:91]
	v_add_f64 v[72:73], v[155:156], v[106:107]
	v_add_f64 v[74:75], v[159:160], v[128:129]
	v_add_f64 v[92:93], v[122:123], v[130:131]
	v_add_f64 v[80:81], v[144:145], v[78:79]
	v_add_f64 v[82:83], v[146:147], v[132:133]
	v_add_f64 v[84:85], v[149:150], v[40:41]
	v_add_f64 v[86:87], v[151:152], v[114:115]
	v_add_f64 v[94:95], v[124:125], v[116:117]
	v_add_f64 v[98:99], v[142:143], v[134:135]
	v_add_f64 v[78:79], v[108:109], v[136:137]
	v_and_b32_e32 v40, 0xffff, v104
	s_delay_alu instid0(VALU_DEP_1) | instskip(NEXT) | instid1(VALU_DEP_1)
	v_mul_u32_u24_e32 v40, 0x8f, v40
	v_add_lshl_u32 v248, v40, v105, 4
	v_add_f64 v[88:89], v[50:51], v[46:47]
	v_add_f64 v[90:91], v[52:53], v[44:45]
	;; [unrolled: 1-line block ×3, first 2 shown]
	ds_store_b128 v248, v[68:71] offset:416
	ds_store_b128 v248, v[64:67] offset:624
	;; [unrolled: 1-line block ×9, first 2 shown]
	ds_store_b128 v248, v[88:91]
	ds_store_b128 v248, v[48:51] offset:208
	s_waitcnt lgkmcnt(0)
	s_barrier
	buffer_gl0_inv
	s_and_saveexec_b32 s2, vcc_lo
	s_cbranch_execz .LBB0_9
; %bb.8:
	ds_load_b128 v[88:91], v245
	ds_load_b128 v[48:51], v245 offset:2288
	ds_load_b128 v[68:71], v245 offset:4576
	;; [unrolled: 1-line block ×12, first 2 shown]
.LBB0_9:
	s_or_b32 exec_lo, exec_lo, s2
	v_add_nc_u32_e32 v40, 0xffffff71, v254
	s_mov_b32 s18, 0x2ef20147
	s_mov_b32 s19, 0xbfedeba7
	s_mov_b32 s8, 0xb2365da1
	s_mov_b32 s9, 0xbfd6b1d8
	v_cndmask_b32_e32 v40, v40, v254, vcc_lo
	s_mov_b32 s26, 0x42a4c3d2
	s_mov_b32 s28, 0x66966769
	;; [unrolled: 1-line block ×4, first 2 shown]
	v_mul_i32_i24_e32 v41, 0xc0, v40
	v_mul_hi_i32_i24_e32 v40, 0xc0, v40
	s_mov_b32 s21, 0xbfddbe06
	s_mov_b32 s20, 0x4267c47c
	;; [unrolled: 1-line block ×3, first 2 shown]
	v_add_co_u32 v108, s0, s0, v41
	s_delay_alu instid0(VALU_DEP_1)
	v_add_co_ci_u32_e64 v109, s0, s1, v40, s0
	s_mov_b32 s29, 0xbfefc445
	s_mov_b32 s23, 0xbfe5384d
	;; [unrolled: 1-line block ×3, first 2 shown]
	s_clause 0x1
	global_load_b128 v[40:43], v[108:109], off offset:2080
	global_load_b128 v[44:47], v[108:109], off offset:2096
	s_mov_b32 s10, 0xe00740e9
	s_mov_b32 s2, 0x1ea71119
	;; [unrolled: 1-line block ×16, first 2 shown]
	s_waitcnt vmcnt(1) lgkmcnt(11)
	v_mul_f64 v[52:53], v[50:51], v[42:43]
	scratch_store_b128 off, v[40:43], off   ; 16-byte Folded Spill
	v_fma_f64 v[110:111], v[48:49], v[40:41], -v[52:53]
	v_mul_f64 v[48:49], v[48:49], v[42:43]
	s_delay_alu instid0(VALU_DEP_2) | instskip(NEXT) | instid1(VALU_DEP_2)
	v_add_f64 v[181:182], v[88:89], v[110:111]
	v_fma_f64 v[112:113], v[50:51], v[40:41], v[48:49]
	s_clause 0x1
	global_load_b128 v[48:51], v[108:109], off offset:2256
	global_load_b128 v[52:55], v[108:109], off offset:2240
	v_add_f64 v[183:184], v[90:91], v[112:113]
	s_waitcnt vmcnt(1) lgkmcnt(0)
	v_mul_f64 v[104:105], v[60:61], v[50:51]
	s_delay_alu instid0(VALU_DEP_1) | instskip(SKIP_1) | instid1(VALU_DEP_2)
	v_fma_f64 v[106:107], v[62:63], v[48:49], v[104:105]
	v_mul_f64 v[62:63], v[62:63], v[50:51]
	v_add_f64 v[140:141], v[112:113], v[106:107]
	s_delay_alu instid0(VALU_DEP_2) | instskip(SKIP_1) | instid1(VALU_DEP_2)
	v_fma_f64 v[104:105], v[60:61], v[48:49], -v[62:63]
	v_mul_f64 v[60:61], v[70:71], v[46:47]
	v_add_f64 v[116:117], v[110:111], v[104:105]
	s_delay_alu instid0(VALU_DEP_2) | instskip(SKIP_1) | instid1(VALU_DEP_1)
	v_fma_f64 v[149:150], v[68:69], v[44:45], -v[60:61]
	v_mul_f64 v[60:61], v[68:69], v[46:47]
	v_fma_f64 v[151:152], v[70:71], v[44:45], v[60:61]
	s_waitcnt vmcnt(0)
	v_mul_f64 v[60:61], v[56:57], v[54:55]
	s_delay_alu instid0(VALU_DEP_1) | instskip(SKIP_1) | instid1(VALU_DEP_1)
	v_fma_f64 v[144:145], v[58:59], v[52:53], v[60:61]
	v_mul_f64 v[58:59], v[58:59], v[54:55]
	v_fma_f64 v[146:147], v[56:57], v[52:53], -v[58:59]
	s_clause 0x1
	global_load_b128 v[56:59], v[108:109], off offset:2112
	global_load_b128 v[60:63], v[108:109], off offset:2128
	s_waitcnt vmcnt(1)
	v_mul_f64 v[68:69], v[66:67], v[58:59]
	s_delay_alu instid0(VALU_DEP_1) | instskip(SKIP_1) | instid1(VALU_DEP_1)
	v_fma_f64 v[153:154], v[64:65], v[56:57], -v[68:69]
	v_mul_f64 v[64:65], v[64:65], v[58:59]
	v_fma_f64 v[155:156], v[66:67], v[56:57], v[64:65]
	s_clause 0x1
	global_load_b128 v[64:67], v[108:109], off offset:2224
	global_load_b128 v[68:71], v[108:109], off offset:2208
	s_waitcnt vmcnt(1)
	v_mul_f64 v[114:115], v[100:101], v[66:67]
	s_delay_alu instid0(VALU_DEP_1) | instskip(SKIP_1) | instid1(VALU_DEP_1)
	v_fma_f64 v[157:158], v[102:103], v[64:65], v[114:115]
	v_mul_f64 v[102:103], v[102:103], v[66:67]
	v_fma_f64 v[159:160], v[100:101], v[64:65], -v[102:103]
	v_mul_f64 v[100:101], v[72:73], v[62:63]
	s_delay_alu instid0(VALU_DEP_1) | instskip(SKIP_1) | instid1(VALU_DEP_1)
	v_fma_f64 v[165:166], v[74:75], v[60:61], v[100:101]
	v_mul_f64 v[74:75], v[74:75], v[62:63]
	v_fma_f64 v[167:168], v[72:73], v[60:61], -v[74:75]
	s_waitcnt vmcnt(0)
	v_mul_f64 v[72:73], v[76:77], v[70:71]
	s_delay_alu instid0(VALU_DEP_1) | instskip(SKIP_1) | instid1(VALU_DEP_2)
	v_fma_f64 v[161:162], v[78:79], v[68:69], v[72:73]
	v_mul_f64 v[72:73], v[78:79], v[70:71]
	v_add_f64 v[211:212], v[165:166], -v[161:162]
	s_delay_alu instid0(VALU_DEP_2)
	v_fma_f64 v[163:164], v[76:77], v[68:69], -v[72:73]
	s_clause 0x1
	global_load_b128 v[72:75], v[108:109], off offset:2144
	global_load_b128 v[76:79], v[108:109], off offset:2160
	v_add_f64 v[219:220], v[165:166], v[161:162]
	v_mul_f64 v[215:216], v[211:212], s[18:19]
	v_add_f64 v[213:214], v[167:168], v[163:164]
	v_add_f64 v[217:218], v[167:168], -v[163:164]
	s_delay_alu instid0(VALU_DEP_1) | instskip(SKIP_2) | instid1(VALU_DEP_1)
	v_mul_f64 v[221:222], v[217:218], s[18:19]
	s_waitcnt vmcnt(1)
	v_mul_f64 v[100:101], v[82:83], v[74:75]
	v_fma_f64 v[169:170], v[80:81], v[72:73], -v[100:101]
	v_mul_f64 v[80:81], v[80:81], v[74:75]
	s_delay_alu instid0(VALU_DEP_1) | instskip(SKIP_2) | instid1(VALU_DEP_1)
	v_fma_f64 v[171:172], v[82:83], v[72:73], v[80:81]
	s_waitcnt vmcnt(0)
	v_mul_f64 v[80:81], v[86:87], v[78:79]
	v_fma_f64 v[173:174], v[84:85], v[76:77], -v[80:81]
	v_mul_f64 v[80:81], v[84:85], v[78:79]
	s_delay_alu instid0(VALU_DEP_1)
	v_fma_f64 v[175:176], v[86:87], v[76:77], v[80:81]
	s_clause 0x1
	global_load_b128 v[84:87], v[108:109], off offset:2176
	global_load_b128 v[80:83], v[108:109], off offset:2192
	s_waitcnt vmcnt(1)
	v_mul_f64 v[100:101], v[94:95], v[86:87]
	s_delay_alu instid0(VALU_DEP_1) | instskip(SKIP_1) | instid1(VALU_DEP_2)
	v_fma_f64 v[177:178], v[92:93], v[84:85], -v[100:101]
	v_mul_f64 v[92:93], v[92:93], v[86:87]
	v_add_f64 v[237:238], v[173:174], v[177:178]
	s_delay_alu instid0(VALU_DEP_2) | instskip(SKIP_3) | instid1(VALU_DEP_3)
	v_fma_f64 v[92:93], v[94:95], v[84:85], v[92:93]
	s_waitcnt vmcnt(0)
	v_mul_f64 v[94:95], v[98:99], v[82:83]
	v_add_f64 v[241:242], v[173:174], -v[177:178]
	v_add_f64 v[235:236], v[175:176], -v[92:93]
	s_delay_alu instid0(VALU_DEP_3) | instskip(SKIP_2) | instid1(VALU_DEP_4)
	v_fma_f64 v[94:95], v[96:97], v[80:81], -v[94:95]
	v_mul_f64 v[96:97], v[96:97], v[82:83]
	v_add_f64 v[243:244], v[175:176], v[92:93]
	v_mul_f64 v[239:240], v[235:236], s[30:31]
	s_delay_alu instid0(VALU_DEP_4) | instskip(NEXT) | instid1(VALU_DEP_4)
	v_add_f64 v[225:226], v[169:170], v[94:95]
	v_fma_f64 v[179:180], v[98:99], v[80:81], v[96:97]
	v_add_f64 v[96:97], v[112:113], -v[106:107]
	v_add_f64 v[229:230], v[169:170], -v[94:95]
	s_delay_alu instid0(VALU_DEP_3) | instskip(NEXT) | instid1(VALU_DEP_3)
	v_add_f64 v[223:224], v[171:172], -v[179:180]
	v_mul_f64 v[108:109], v[96:97], s[18:19]
	v_mul_f64 v[98:99], v[96:97], s[20:21]
	;; [unrolled: 1-line block ×6, first 2 shown]
	v_add_f64 v[231:232], v[171:172], v[179:180]
	v_mul_f64 v[233:234], v[229:230], s[22:23]
	v_mul_f64 v[227:228], v[223:224], s[22:23]
	v_fma_f64 v[124:125], v[116:117], s[8:9], -v[108:109]
	v_fma_f64 v[126:127], v[116:117], s[8:9], v[108:109]
	v_add_f64 v[108:109], v[110:111], -v[104:105]
	v_fma_f64 v[118:119], v[116:117], s[10:11], -v[98:99]
	v_fma_f64 v[98:99], v[116:117], s[10:11], v[98:99]
	v_fma_f64 v[120:121], v[116:117], s[2:3], -v[100:101]
	v_fma_f64 v[100:101], v[116:117], s[2:3], v[100:101]
	;; [unrolled: 2-line block ×5, first 2 shown]
	v_mul_f64 v[132:133], v[108:109], s[26:27]
	v_mul_f64 v[136:137], v[108:109], s[18:19]
	;; [unrolled: 1-line block ×6, first 2 shown]
	v_add_f64 v[112:113], v[88:89], v[118:119]
	v_add_f64 v[98:99], v[88:89], v[98:99]
	;; [unrolled: 1-line block ×8, first 2 shown]
	s_mov_b32 s21, 0x3fddbe06
	v_fma_f64 v[185:186], v[140:141], s[2:3], v[132:133]
	v_fma_f64 v[132:133], v[140:141], s[2:3], -v[132:133]
	v_fma_f64 v[189:190], v[140:141], s[8:9], v[136:137]
	v_fma_f64 v[142:143], v[140:141], s[10:11], v[116:117]
	;; [unrolled: 1-line block ×3, first 2 shown]
	v_fma_f64 v[134:135], v[140:141], s[0:1], -v[134:135]
	v_fma_f64 v[193:194], v[140:141], s[16:17], -v[138:139]
	v_fma_f64 v[191:192], v[140:141], s[16:17], v[138:139]
	v_fma_f64 v[195:196], v[140:141], s[24:25], v[108:109]
	v_fma_f64 v[197:198], v[140:141], s[24:25], -v[108:109]
	v_add_f64 v[138:139], v[88:89], v[128:129]
	v_fma_f64 v[116:117], v[140:141], s[10:11], -v[116:117]
	v_fma_f64 v[136:137], v[140:141], s[8:9], -v[136:137]
	v_add_f64 v[203:204], v[90:91], v[185:186]
	v_add_f64 v[205:206], v[90:91], v[132:133]
	;; [unrolled: 1-line block ×3, first 2 shown]
	v_add_f64 v[189:190], v[151:152], -v[144:145]
	v_add_f64 v[199:200], v[90:91], v[142:143]
	v_add_f64 v[108:109], v[90:91], v[134:135]
	;; [unrolled: 1-line block ×7, first 2 shown]
	v_add_f64 v[193:194], v[149:150], -v[146:147]
	v_add_f64 v[209:210], v[90:91], v[187:188]
	v_add_f64 v[140:141], v[90:91], v[195:196]
	;; [unrolled: 1-line block ×3, first 2 shown]
	v_add_f64 v[195:196], v[155:156], -v[157:158]
	v_add_f64 v[201:202], v[90:91], v[116:117]
	v_add_f64 v[116:117], v[90:91], v[136:137]
	;; [unrolled: 1-line block ×5, first 2 shown]
	v_add_f64 v[197:198], v[153:154], -v[159:160]
	v_add_f64 v[149:150], v[181:182], v[149:150]
	v_add_f64 v[151:152], v[183:184], v[151:152]
	v_mul_f64 v[96:97], v[189:190], s[26:27]
	v_mul_f64 v[122:123], v[193:194], s[26:27]
	;; [unrolled: 1-line block ×4, first 2 shown]
	v_add_f64 v[149:150], v[149:150], v[153:154]
	v_add_f64 v[151:152], v[151:152], v[155:156]
	v_fma_f64 v[102:103], v[185:186], s[2:3], -v[96:97]
	v_fma_f64 v[96:97], v[185:186], s[2:3], v[96:97]
	v_fma_f64 v[114:115], v[191:192], s[0:1], -v[128:129]
	v_add_f64 v[149:150], v[149:150], v[167:168]
	v_add_f64 v[151:152], v[151:152], v[165:166]
	;; [unrolled: 1-line block ×3, first 2 shown]
	v_fma_f64 v[112:113], v[187:188], s[2:3], v[122:123]
	v_add_f64 v[96:97], v[96:97], v[98:99]
	v_fma_f64 v[98:99], v[187:188], s[2:3], -v[122:123]
	v_fma_f64 v[122:123], v[191:192], s[0:1], v[128:129]
	v_mul_f64 v[128:129], v[193:194], s[18:19]
	v_add_f64 v[149:150], v[149:150], v[169:170]
	v_add_f64 v[151:152], v[151:152], v[171:172]
	;; [unrolled: 1-line block ×9, first 2 shown]
	v_fma_f64 v[114:115], v[199:200], s[0:1], v[130:131]
	v_fma_f64 v[122:123], v[199:200], s[0:1], -v[130:131]
	v_mul_f64 v[130:131], v[195:196], s[30:31]
	v_add_f64 v[149:150], v[149:150], v[177:178]
	v_add_f64 v[92:93], v[151:152], v[92:93]
	;; [unrolled: 1-line block ×3, first 2 shown]
	v_fma_f64 v[114:115], v[213:214], s[8:9], -v[215:216]
	v_add_f64 v[98:99], v[122:123], v[98:99]
	v_fma_f64 v[122:123], v[213:214], s[8:9], v[215:216]
	v_fma_f64 v[201:202], v[191:192], s[24:25], -v[130:131]
	v_add_f64 v[94:95], v[149:150], v[94:95]
	v_add_f64 v[92:93], v[92:93], v[179:180]
	;; [unrolled: 1-line block ×3, first 2 shown]
	v_fma_f64 v[114:115], v[219:220], s[8:9], v[221:222]
	v_add_f64 v[96:97], v[122:123], v[96:97]
	v_fma_f64 v[122:123], v[219:220], s[8:9], -v[221:222]
	v_add_f64 v[94:95], v[94:95], v[163:164]
	v_add_f64 v[92:93], v[92:93], v[161:162]
	;; [unrolled: 1-line block ×3, first 2 shown]
	v_fma_f64 v[114:115], v[225:226], s[16:17], -v[227:228]
	v_add_f64 v[98:99], v[122:123], v[98:99]
	v_fma_f64 v[122:123], v[225:226], s[16:17], v[227:228]
	v_add_f64 v[94:95], v[94:95], v[159:160]
	v_add_f64 v[92:93], v[92:93], v[157:158]
	;; [unrolled: 1-line block ×3, first 2 shown]
	v_fma_f64 v[114:115], v[231:232], s[16:17], v[233:234]
	v_add_f64 v[96:97], v[122:123], v[96:97]
	v_fma_f64 v[122:123], v[231:232], s[16:17], -v[233:234]
	v_add_f64 v[94:95], v[94:95], v[146:147]
	v_add_f64 v[92:93], v[92:93], v[144:145]
	;; [unrolled: 1-line block ×3, first 2 shown]
	v_fma_f64 v[112:113], v[237:238], s[24:25], -v[239:240]
	v_add_f64 v[98:99], v[122:123], v[98:99]
	v_fma_f64 v[122:123], v[237:238], s[24:25], v[239:240]
	v_add_f64 v[104:105], v[94:95], v[104:105]
	v_add_f64 v[106:107], v[92:93], v[106:107]
	;; [unrolled: 1-line block ×3, first 2 shown]
	v_mul_f64 v[102:103], v[241:242], s[30:31]
	v_add_f64 v[96:97], v[122:123], v[96:97]
	s_delay_alu instid0(VALU_DEP_2) | instskip(SKIP_1) | instid1(VALU_DEP_2)
	v_fma_f64 v[249:250], v[243:244], s[24:25], v[102:103]
	v_fma_f64 v[102:103], v[243:244], s[24:25], -v[102:103]
	v_add_f64 v[114:115], v[249:250], v[114:115]
	s_delay_alu instid0(VALU_DEP_2) | instskip(SKIP_1) | instid1(VALU_DEP_1)
	v_add_f64 v[98:99], v[102:103], v[98:99]
	v_mul_f64 v[102:103], v[189:190], s[18:19]
	v_fma_f64 v[122:123], v[185:186], s[8:9], -v[102:103]
	v_fma_f64 v[102:103], v[185:186], s[8:9], v[102:103]
	s_delay_alu instid0(VALU_DEP_2) | instskip(SKIP_1) | instid1(VALU_DEP_3)
	v_add_f64 v[120:121], v[122:123], v[120:121]
	v_fma_f64 v[122:123], v[187:188], s[8:9], v[128:129]
	v_add_f64 v[100:101], v[102:103], v[100:101]
	v_fma_f64 v[102:103], v[187:188], s[8:9], -v[128:129]
	v_fma_f64 v[128:129], v[191:192], s[24:25], v[130:131]
	v_add_f64 v[120:121], v[201:202], v[120:121]
	v_mul_f64 v[201:202], v[197:198], s[30:31]
	v_add_f64 v[122:123], v[122:123], v[203:204]
	v_add_f64 v[102:103], v[102:103], v[205:206]
	;; [unrolled: 1-line block ×3, first 2 shown]
	v_mul_f64 v[205:206], v[195:196], s[38:39]
	v_fma_f64 v[203:204], v[199:200], s[24:25], v[201:202]
	v_fma_f64 v[128:129], v[199:200], s[24:25], -v[201:202]
	v_mul_f64 v[201:202], v[189:190], s[30:31]
	s_delay_alu instid0(VALU_DEP_3) | instskip(SKIP_1) | instid1(VALU_DEP_4)
	v_add_f64 v[122:123], v[203:204], v[122:123]
	v_mul_f64 v[203:204], v[211:212], s[36:37]
	v_add_f64 v[102:103], v[128:129], v[102:103]
	s_delay_alu instid0(VALU_DEP_2) | instskip(SKIP_3) | instid1(VALU_DEP_3)
	v_fma_f64 v[215:216], v[213:214], s[16:17], -v[203:204]
	v_fma_f64 v[128:129], v[213:214], s[16:17], v[203:204]
	v_mul_f64 v[203:204], v[193:194], s[30:31]
	s_mov_b32 s31, 0x3fcea1e5
	v_add_f64 v[120:121], v[215:216], v[120:121]
	v_mul_f64 v[215:216], v[217:218], s[36:37]
	s_delay_alu instid0(VALU_DEP_4) | instskip(NEXT) | instid1(VALU_DEP_2)
	v_add_f64 v[100:101], v[128:129], v[100:101]
	v_fma_f64 v[221:222], v[219:220], s[16:17], v[215:216]
	v_fma_f64 v[128:129], v[219:220], s[16:17], -v[215:216]
	s_delay_alu instid0(VALU_DEP_2) | instskip(SKIP_1) | instid1(VALU_DEP_3)
	v_add_f64 v[122:123], v[221:222], v[122:123]
	v_mul_f64 v[221:222], v[223:224], s[34:35]
	v_add_f64 v[102:103], v[128:129], v[102:103]
	s_delay_alu instid0(VALU_DEP_2) | instskip(SKIP_1) | instid1(VALU_DEP_2)
	v_fma_f64 v[227:228], v[225:226], s[0:1], -v[221:222]
	v_fma_f64 v[128:129], v[225:226], s[0:1], v[221:222]
	v_add_f64 v[120:121], v[227:228], v[120:121]
	v_mul_f64 v[227:228], v[229:230], s[34:35]
	s_delay_alu instid0(VALU_DEP_3) | instskip(NEXT) | instid1(VALU_DEP_2)
	v_add_f64 v[100:101], v[128:129], v[100:101]
	v_fma_f64 v[233:234], v[231:232], s[0:1], v[227:228]
	v_fma_f64 v[128:129], v[231:232], s[0:1], -v[227:228]
	s_delay_alu instid0(VALU_DEP_2) | instskip(SKIP_1) | instid1(VALU_DEP_3)
	v_add_f64 v[122:123], v[233:234], v[122:123]
	v_mul_f64 v[233:234], v[235:236], s[20:21]
	v_add_f64 v[102:103], v[128:129], v[102:103]
	s_delay_alu instid0(VALU_DEP_2) | instskip(SKIP_1) | instid1(VALU_DEP_2)
	v_fma_f64 v[239:240], v[237:238], s[10:11], -v[233:234]
	v_fma_f64 v[128:129], v[237:238], s[10:11], v[233:234]
	v_add_f64 v[120:121], v[239:240], v[120:121]
	v_mul_f64 v[239:240], v[241:242], s[20:21]
	s_delay_alu instid0(VALU_DEP_3) | instskip(SKIP_2) | instid1(VALU_DEP_4)
	v_add_f64 v[100:101], v[128:129], v[100:101]
	v_fma_f64 v[128:129], v[185:186], s[24:25], -v[201:202]
	v_fma_f64 v[201:202], v[185:186], s[24:25], v[201:202]
	v_fma_f64 v[130:131], v[243:244], s[10:11], -v[239:240]
	v_fma_f64 v[249:250], v[243:244], s[10:11], v[239:240]
	s_delay_alu instid0(VALU_DEP_4)
	v_add_f64 v[128:129], v[128:129], v[207:208]
	v_fma_f64 v[207:208], v[191:192], s[8:9], -v[205:206]
	v_add_f64 v[110:111], v[201:202], v[110:111]
	v_fma_f64 v[201:202], v[187:188], s[24:25], -v[203:204]
	v_add_f64 v[102:103], v[130:131], v[102:103]
	v_fma_f64 v[130:131], v[187:188], s[24:25], v[203:204]
	v_add_f64 v[122:123], v[249:250], v[122:123]
	v_add_f64 v[128:129], v[207:208], v[128:129]
	v_mul_f64 v[207:208], v[197:198], s[38:39]
	v_add_f64 v[108:109], v[201:202], v[108:109]
	v_fma_f64 v[201:202], v[191:192], s[8:9], v[205:206]
	v_add_f64 v[130:131], v[130:131], v[209:210]
	s_delay_alu instid0(VALU_DEP_4) | instskip(NEXT) | instid1(VALU_DEP_3)
	v_fma_f64 v[209:210], v[199:200], s[8:9], v[207:208]
	v_add_f64 v[110:111], v[201:202], v[110:111]
	v_fma_f64 v[201:202], v[199:200], s[8:9], -v[207:208]
	s_delay_alu instid0(VALU_DEP_3) | instskip(SKIP_1) | instid1(VALU_DEP_3)
	v_add_f64 v[130:131], v[209:210], v[130:131]
	v_mul_f64 v[209:210], v[211:212], s[20:21]
	v_add_f64 v[108:109], v[201:202], v[108:109]
	s_delay_alu instid0(VALU_DEP_2) | instskip(SKIP_1) | instid1(VALU_DEP_2)
	v_fma_f64 v[215:216], v[213:214], s[10:11], -v[209:210]
	v_fma_f64 v[201:202], v[213:214], s[10:11], v[209:210]
	v_add_f64 v[128:129], v[215:216], v[128:129]
	v_mul_f64 v[215:216], v[217:218], s[20:21]
	s_delay_alu instid0(VALU_DEP_3) | instskip(NEXT) | instid1(VALU_DEP_2)
	v_add_f64 v[110:111], v[201:202], v[110:111]
	v_fma_f64 v[221:222], v[219:220], s[10:11], v[215:216]
	v_fma_f64 v[201:202], v[219:220], s[10:11], -v[215:216]
	s_delay_alu instid0(VALU_DEP_2) | instskip(SKIP_1) | instid1(VALU_DEP_3)
	v_add_f64 v[130:131], v[221:222], v[130:131]
	v_mul_f64 v[221:222], v[223:224], s[26:27]
	v_add_f64 v[108:109], v[201:202], v[108:109]
	s_delay_alu instid0(VALU_DEP_2) | instskip(SKIP_1) | instid1(VALU_DEP_2)
	v_fma_f64 v[227:228], v[225:226], s[2:3], -v[221:222]
	v_fma_f64 v[201:202], v[225:226], s[2:3], v[221:222]
	v_add_f64 v[128:129], v[227:228], v[128:129]
	v_mul_f64 v[227:228], v[229:230], s[26:27]
	s_delay_alu instid0(VALU_DEP_3) | instskip(NEXT) | instid1(VALU_DEP_2)
	v_add_f64 v[110:111], v[201:202], v[110:111]
	v_fma_f64 v[233:234], v[231:232], s[2:3], v[227:228]
	v_fma_f64 v[201:202], v[231:232], s[2:3], -v[227:228]
	s_delay_alu instid0(VALU_DEP_2) | instskip(SKIP_1) | instid1(VALU_DEP_3)
	v_add_f64 v[130:131], v[233:234], v[130:131]
	v_mul_f64 v[233:234], v[235:236], s[22:23]
	v_add_f64 v[201:202], v[201:202], v[108:109]
	s_delay_alu instid0(VALU_DEP_2) | instskip(SKIP_1) | instid1(VALU_DEP_2)
	v_fma_f64 v[239:240], v[237:238], s[16:17], -v[233:234]
	v_fma_f64 v[108:109], v[237:238], s[16:17], v[233:234]
	v_add_f64 v[128:129], v[239:240], v[128:129]
	v_mul_f64 v[239:240], v[241:242], s[22:23]
	s_delay_alu instid0(VALU_DEP_3) | instskip(NEXT) | instid1(VALU_DEP_2)
	v_add_f64 v[108:109], v[108:109], v[110:111]
	v_fma_f64 v[203:204], v[243:244], s[16:17], -v[239:240]
	v_fma_f64 v[249:250], v[243:244], s[16:17], v[239:240]
	s_delay_alu instid0(VALU_DEP_2) | instskip(SKIP_1) | instid1(VALU_DEP_3)
	v_add_f64 v[110:111], v[203:204], v[201:202]
	v_mul_f64 v[201:202], v[189:190], s[36:37]
	v_add_f64 v[130:131], v[249:250], v[130:131]
	s_delay_alu instid0(VALU_DEP_2) | instskip(SKIP_1) | instid1(VALU_DEP_2)
	v_fma_f64 v[203:204], v[185:186], s[16:17], -v[201:202]
	v_fma_f64 v[201:202], v[185:186], s[16:17], v[201:202]
	v_add_f64 v[134:135], v[203:204], v[134:135]
	v_mul_f64 v[203:204], v[193:194], s[36:37]
	s_delay_alu instid0(VALU_DEP_3) | instskip(NEXT) | instid1(VALU_DEP_2)
	v_add_f64 v[118:119], v[201:202], v[118:119]
	v_fma_f64 v[205:206], v[187:188], s[16:17], v[203:204]
	v_fma_f64 v[201:202], v[187:188], s[16:17], -v[203:204]
	s_delay_alu instid0(VALU_DEP_2) | instskip(SKIP_1) | instid1(VALU_DEP_3)
	v_add_f64 v[132:133], v[205:206], v[132:133]
	v_mul_f64 v[205:206], v[195:196], s[20:21]
	v_add_f64 v[116:117], v[201:202], v[116:117]
	s_delay_alu instid0(VALU_DEP_2) | instskip(SKIP_1) | instid1(VALU_DEP_2)
	v_fma_f64 v[207:208], v[191:192], s[10:11], -v[205:206]
	v_fma_f64 v[201:202], v[191:192], s[10:11], v[205:206]
	v_add_f64 v[134:135], v[207:208], v[134:135]
	v_mul_f64 v[207:208], v[197:198], s[20:21]
	s_delay_alu instid0(VALU_DEP_3) | instskip(NEXT) | instid1(VALU_DEP_2)
	v_add_f64 v[118:119], v[201:202], v[118:119]
	v_fma_f64 v[209:210], v[199:200], s[10:11], v[207:208]
	v_fma_f64 v[201:202], v[199:200], s[10:11], -v[207:208]
	s_delay_alu instid0(VALU_DEP_2) | instskip(SKIP_1) | instid1(VALU_DEP_3)
	v_add_f64 v[132:133], v[209:210], v[132:133]
	v_mul_f64 v[209:210], v[211:212], s[28:29]
	v_add_f64 v[116:117], v[201:202], v[116:117]
	s_delay_alu instid0(VALU_DEP_2) | instskip(SKIP_1) | instid1(VALU_DEP_2)
	v_fma_f64 v[215:216], v[213:214], s[0:1], -v[209:210]
	v_fma_f64 v[201:202], v[213:214], s[0:1], v[209:210]
	v_add_f64 v[134:135], v[215:216], v[134:135]
	v_mul_f64 v[215:216], v[217:218], s[28:29]
	s_delay_alu instid0(VALU_DEP_3) | instskip(SKIP_2) | instid1(SALU_CYCLE_1)
	v_add_f64 v[118:119], v[201:202], v[118:119]
	s_mov_b32 s29, 0x3fea55e2
	s_mov_b32 s28, s26
	v_mul_f64 v[239:240], v[235:236], s[28:29]
	v_mul_f64 v[249:250], v[241:242], s[28:29]
	s_delay_alu instid0(VALU_DEP_4) | instskip(SKIP_1) | instid1(VALU_DEP_3)
	v_fma_f64 v[221:222], v[219:220], s[0:1], v[215:216]
	v_fma_f64 v[201:202], v[219:220], s[0:1], -v[215:216]
	v_fma_f64 v[203:204], v[243:244], s[2:3], -v[249:250]
	s_delay_alu instid0(VALU_DEP_3) | instskip(SKIP_1) | instid1(VALU_DEP_4)
	v_add_f64 v[132:133], v[221:222], v[132:133]
	v_mul_f64 v[221:222], v[223:224], s[30:31]
	v_add_f64 v[116:117], v[201:202], v[116:117]
	s_delay_alu instid0(VALU_DEP_2) | instskip(SKIP_1) | instid1(VALU_DEP_2)
	v_fma_f64 v[227:228], v[225:226], s[24:25], -v[221:222]
	v_fma_f64 v[201:202], v[225:226], s[24:25], v[221:222]
	v_add_f64 v[134:135], v[227:228], v[134:135]
	v_mul_f64 v[227:228], v[229:230], s[30:31]
	s_delay_alu instid0(VALU_DEP_3) | instskip(NEXT) | instid1(VALU_DEP_2)
	v_add_f64 v[118:119], v[201:202], v[118:119]
	v_fma_f64 v[201:202], v[231:232], s[24:25], -v[227:228]
	v_fma_f64 v[233:234], v[231:232], s[24:25], v[227:228]
	s_delay_alu instid0(VALU_DEP_2) | instskip(SKIP_1) | instid1(VALU_DEP_3)
	v_add_f64 v[201:202], v[201:202], v[116:117]
	v_fma_f64 v[116:117], v[237:238], s[2:3], v[239:240]
	v_add_f64 v[233:234], v[233:234], v[132:133]
	v_fma_f64 v[132:133], v[237:238], s[2:3], -v[239:240]
	v_mul_f64 v[239:240], v[235:236], s[18:19]
	s_delay_alu instid0(VALU_DEP_4)
	v_add_f64 v[116:117], v[116:117], v[118:119]
	v_add_f64 v[118:119], v[203:204], v[201:202]
	v_mul_f64 v[201:202], v[189:190], s[34:35]
	v_add_f64 v[132:133], v[132:133], v[134:135]
	v_fma_f64 v[134:135], v[243:244], s[2:3], v[249:250]
	v_mul_f64 v[249:250], v[241:242], s[18:19]
	v_mul_f64 v[189:190], v[189:190], s[20:21]
	v_fma_f64 v[203:204], v[185:186], s[0:1], -v[201:202]
	v_fma_f64 v[201:202], v[185:186], s[0:1], v[201:202]
	v_add_f64 v[134:135], v[134:135], v[233:234]
	s_delay_alu instid0(VALU_DEP_4) | instskip(NEXT) | instid1(VALU_DEP_4)
	v_fma_f64 v[92:93], v[185:186], s[10:11], v[189:190]
	v_add_f64 v[138:139], v[203:204], v[138:139]
	v_mul_f64 v[203:204], v[193:194], s[34:35]
	v_add_f64 v[126:127], v[201:202], v[126:127]
	v_mul_f64 v[193:194], v[193:194], s[20:21]
	v_add_f64 v[88:89], v[92:93], v[88:89]
	s_delay_alu instid0(VALU_DEP_4) | instskip(SKIP_3) | instid1(VALU_DEP_4)
	v_fma_f64 v[205:206], v[187:188], s[0:1], v[203:204]
	v_fma_f64 v[201:202], v[187:188], s[0:1], -v[203:204]
	v_fma_f64 v[203:204], v[243:244], s[8:9], -v[249:250]
	;; [unrolled: 1-line block ×3, first 2 shown]
	v_add_f64 v[136:137], v[205:206], v[136:137]
	v_mul_f64 v[205:206], v[195:196], s[26:27]
	v_add_f64 v[124:125], v[201:202], v[124:125]
	v_mul_f64 v[195:196], v[195:196], s[22:23]
	v_add_f64 v[90:91], v[94:95], v[90:91]
	s_delay_alu instid0(VALU_DEP_4) | instskip(SKIP_1) | instid1(VALU_DEP_4)
	v_fma_f64 v[207:208], v[191:192], s[2:3], -v[205:206]
	v_fma_f64 v[201:202], v[191:192], s[2:3], v[205:206]
	v_fma_f64 v[144:145], v[191:192], s[16:17], v[195:196]
	s_delay_alu instid0(VALU_DEP_3) | instskip(SKIP_1) | instid1(VALU_DEP_4)
	v_add_f64 v[138:139], v[207:208], v[138:139]
	v_mul_f64 v[207:208], v[197:198], s[26:27]
	v_add_f64 v[126:127], v[201:202], v[126:127]
	v_mul_f64 v[197:198], v[197:198], s[22:23]
	v_add_f64 v[88:89], v[144:145], v[88:89]
	s_delay_alu instid0(VALU_DEP_4) | instskip(SKIP_1) | instid1(VALU_DEP_4)
	v_fma_f64 v[209:210], v[199:200], s[2:3], v[207:208]
	v_fma_f64 v[201:202], v[199:200], s[2:3], -v[207:208]
	v_fma_f64 v[146:147], v[199:200], s[16:17], -v[197:198]
	s_delay_alu instid0(VALU_DEP_3) | instskip(SKIP_1) | instid1(VALU_DEP_4)
	v_add_f64 v[136:137], v[209:210], v[136:137]
	v_mul_f64 v[209:210], v[211:212], s[30:31]
	v_add_f64 v[124:125], v[201:202], v[124:125]
	s_delay_alu instid0(VALU_DEP_4) | instskip(NEXT) | instid1(VALU_DEP_3)
	v_add_f64 v[90:91], v[146:147], v[90:91]
	v_fma_f64 v[215:216], v[213:214], s[24:25], -v[209:210]
	v_fma_f64 v[201:202], v[213:214], s[24:25], v[209:210]
	s_delay_alu instid0(VALU_DEP_2) | instskip(SKIP_1) | instid1(VALU_DEP_3)
	v_add_f64 v[138:139], v[215:216], v[138:139]
	v_mul_f64 v[215:216], v[217:218], s[30:31]
	v_add_f64 v[126:127], v[201:202], v[126:127]
	s_delay_alu instid0(VALU_DEP_2) | instskip(SKIP_2) | instid1(VALU_DEP_3)
	v_fma_f64 v[221:222], v[219:220], s[24:25], v[215:216]
	v_fma_f64 v[201:202], v[219:220], s[24:25], -v[215:216]
	v_mul_f64 v[215:216], v[241:242], s[34:35]
	v_add_f64 v[136:137], v[221:222], v[136:137]
	v_mul_f64 v[221:222], v[223:224], s[20:21]
	s_delay_alu instid0(VALU_DEP_4) | instskip(NEXT) | instid1(VALU_DEP_2)
	v_add_f64 v[124:125], v[201:202], v[124:125]
	v_fma_f64 v[227:228], v[225:226], s[10:11], -v[221:222]
	v_fma_f64 v[201:202], v[225:226], s[10:11], v[221:222]
	s_delay_alu instid0(VALU_DEP_2) | instskip(SKIP_1) | instid1(VALU_DEP_3)
	v_add_f64 v[138:139], v[227:228], v[138:139]
	v_mul_f64 v[227:228], v[229:230], s[20:21]
	v_add_f64 v[126:127], v[201:202], v[126:127]
	s_delay_alu instid0(VALU_DEP_2) | instskip(SKIP_1) | instid1(VALU_DEP_2)
	v_fma_f64 v[201:202], v[231:232], s[10:11], -v[227:228]
	v_fma_f64 v[233:234], v[231:232], s[10:11], v[227:228]
	v_add_f64 v[201:202], v[201:202], v[124:125]
	v_fma_f64 v[124:125], v[237:238], s[8:9], v[239:240]
	s_delay_alu instid0(VALU_DEP_3) | instskip(SKIP_1) | instid1(VALU_DEP_3)
	v_add_f64 v[233:234], v[233:234], v[136:137]
	v_fma_f64 v[136:137], v[237:238], s[8:9], -v[239:240]
	v_add_f64 v[124:125], v[124:125], v[126:127]
	v_add_f64 v[126:127], v[203:204], v[201:202]
	v_fma_f64 v[201:202], v[185:186], s[10:11], -v[189:190]
	s_delay_alu instid0(VALU_DEP_4) | instskip(SKIP_1) | instid1(VALU_DEP_3)
	v_add_f64 v[136:137], v[136:137], v[138:139]
	v_fma_f64 v[138:139], v[243:244], s[8:9], v[249:250]
	v_add_f64 v[142:143], v[201:202], v[142:143]
	v_fma_f64 v[201:202], v[187:188], s[10:11], v[193:194]
	s_delay_alu instid0(VALU_DEP_3) | instskip(NEXT) | instid1(VALU_DEP_2)
	v_add_f64 v[138:139], v[138:139], v[233:234]
	v_add_f64 v[140:141], v[201:202], v[140:141]
	v_fma_f64 v[201:202], v[191:192], s[16:17], -v[195:196]
	s_delay_alu instid0(VALU_DEP_1) | instskip(SKIP_1) | instid1(VALU_DEP_1)
	v_add_f64 v[142:143], v[201:202], v[142:143]
	v_fma_f64 v[201:202], v[199:200], s[16:17], v[197:198]
	v_add_f64 v[140:141], v[201:202], v[140:141]
	v_mul_f64 v[201:202], v[211:212], s[28:29]
	v_mul_f64 v[211:212], v[235:236], s[34:35]
	s_delay_alu instid0(VALU_DEP_2) | instskip(SKIP_1) | instid1(VALU_DEP_2)
	v_fma_f64 v[203:204], v[213:214], s[2:3], -v[201:202]
	v_fma_f64 v[92:93], v[213:214], s[2:3], v[201:202]
	v_add_f64 v[142:143], v[203:204], v[142:143]
	v_mul_f64 v[203:204], v[217:218], s[28:29]
	s_delay_alu instid0(VALU_DEP_3) | instskip(SKIP_1) | instid1(VALU_DEP_3)
	v_add_f64 v[88:89], v[92:93], v[88:89]
	v_fma_f64 v[92:93], v[237:238], s[0:1], v[211:212]
	v_fma_f64 v[205:206], v[219:220], s[2:3], v[203:204]
	v_fma_f64 v[94:95], v[219:220], s[2:3], -v[203:204]
	s_delay_alu instid0(VALU_DEP_2) | instskip(SKIP_1) | instid1(VALU_DEP_3)
	v_add_f64 v[140:141], v[205:206], v[140:141]
	v_mul_f64 v[205:206], v[223:224], s[18:19]
	v_add_f64 v[90:91], v[94:95], v[90:91]
	v_fma_f64 v[94:95], v[243:244], s[0:1], -v[215:216]
	s_delay_alu instid0(VALU_DEP_3) | instskip(SKIP_1) | instid1(VALU_DEP_2)
	v_fma_f64 v[207:208], v[225:226], s[8:9], -v[205:206]
	v_fma_f64 v[144:145], v[225:226], s[8:9], v[205:206]
	v_add_f64 v[142:143], v[207:208], v[142:143]
	v_mul_f64 v[207:208], v[229:230], s[18:19]
	s_delay_alu instid0(VALU_DEP_3) | instskip(NEXT) | instid1(VALU_DEP_2)
	v_add_f64 v[88:89], v[144:145], v[88:89]
	v_fma_f64 v[209:210], v[231:232], s[8:9], v[207:208]
	v_fma_f64 v[146:147], v[231:232], s[8:9], -v[207:208]
	s_delay_alu instid0(VALU_DEP_3) | instskip(NEXT) | instid1(VALU_DEP_3)
	v_add_f64 v[144:145], v[92:93], v[88:89]
	v_add_f64 v[209:210], v[209:210], v[140:141]
	v_fma_f64 v[140:141], v[237:238], s[0:1], -v[211:212]
	s_delay_alu instid0(VALU_DEP_4) | instskip(NEXT) | instid1(VALU_DEP_2)
	v_add_f64 v[90:91], v[146:147], v[90:91]
	v_add_f64 v[140:141], v[140:141], v[142:143]
	v_fma_f64 v[142:143], v[243:244], s[0:1], v[215:216]
	s_delay_alu instid0(VALU_DEP_3) | instskip(NEXT) | instid1(VALU_DEP_2)
	v_add_f64 v[146:147], v[94:95], v[90:91]
	v_add_f64 v[142:143], v[142:143], v[209:210]
	s_and_saveexec_b32 s0, vcc_lo
	s_cbranch_execz .LBB0_11
; %bb.10:
	ds_store_b128 v245, v[104:107]
	ds_store_b128 v245, v[112:115] offset:2288
	ds_store_b128 v245, v[120:123] offset:4576
	;; [unrolled: 1-line block ×12, first 2 shown]
.LBB0_11:
	s_or_b32 exec_lo, exec_lo, s0
	s_waitcnt lgkmcnt(0)
	s_waitcnt_vscnt null, 0x0
	s_barrier
	buffer_gl0_inv
	s_and_saveexec_b32 s1, vcc_lo
	s_cbranch_execz .LBB0_13
; %bb.12:
	v_add_co_u32 v88, s0, s14, v245
	s_delay_alu instid0(VALU_DEP_1) | instskip(NEXT) | instid1(VALU_DEP_2)
	v_add_co_ci_u32_e64 v89, null, s15, 0, s0
	v_add_co_u32 v90, s0, 0x7000, v88
	s_delay_alu instid0(VALU_DEP_1) | instskip(SKIP_1) | instid1(VALU_DEP_1)
	v_add_co_ci_u32_e64 v91, s0, 0, v89, s0
	v_add_co_u32 v94, s0, 0x7430, v88
	v_add_co_ci_u32_e64 v95, s0, 0, v89, s0
	s_clause 0x1
	global_load_b128 v[90:93], v[90:91], off offset:1072
	global_load_b128 v[149:152], v[94:95], off offset:2288
	v_add_co_u32 v94, s0, 0x8000, v88
	s_delay_alu instid0(VALU_DEP_1) | instskip(SKIP_4) | instid1(VALU_DEP_1)
	v_add_co_ci_u32_e64 v95, s0, 0, v89, s0
	s_clause 0x1
	global_load_b128 v[153:156], v[94:95], off offset:1552
	global_load_b128 v[157:160], v[94:95], off offset:3840
	v_add_co_u32 v94, s0, 0x9000, v88
	v_add_co_ci_u32_e64 v95, s0, 0, v89, s0
	v_add_co_u32 v177, s0, 0xa000, v88
	s_delay_alu instid0(VALU_DEP_1)
	v_add_co_ci_u32_e64 v178, s0, 0, v89, s0
	global_load_b128 v[161:164], v[94:95], off offset:2032
	v_add_co_u32 v185, s0, 0xb000, v88
	global_load_b128 v[165:168], v[177:178], off offset:224
	ds_load_b128 v[169:172], v245
	ds_load_b128 v[173:176], v245 offset:2288
	v_add_co_ci_u32_e64 v186, s0, 0, v89, s0
	s_waitcnt vmcnt(5) lgkmcnt(1)
	v_mul_f64 v[94:95], v[171:172], v[92:93]
	v_mul_f64 v[179:180], v[169:170], v[92:93]
	s_delay_alu instid0(VALU_DEP_2) | instskip(NEXT) | instid1(VALU_DEP_2)
	v_fma_f64 v[92:93], v[169:170], v[90:91], -v[94:95]
	v_fma_f64 v[94:95], v[171:172], v[90:91], v[179:180]
	s_waitcnt vmcnt(4) lgkmcnt(0)
	v_mul_f64 v[90:91], v[175:176], v[151:152]
	v_mul_f64 v[151:152], v[173:174], v[151:152]
	ds_load_b128 v[169:172], v245 offset:4576
	v_fma_f64 v[173:174], v[173:174], v[149:150], -v[90:91]
	v_fma_f64 v[175:176], v[175:176], v[149:150], v[151:152]
	ds_load_b128 v[149:152], v245 offset:6864
	s_waitcnt vmcnt(3) lgkmcnt(1)
	v_mul_f64 v[90:91], v[171:172], v[155:156]
	v_mul_f64 v[155:156], v[169:170], v[155:156]
	s_delay_alu instid0(VALU_DEP_2) | instskip(SKIP_3) | instid1(VALU_DEP_4)
	v_fma_f64 v[169:170], v[169:170], v[153:154], -v[90:91]
	s_waitcnt vmcnt(2) lgkmcnt(0)
	v_mul_f64 v[90:91], v[151:152], v[159:160]
	v_mul_f64 v[159:160], v[149:150], v[159:160]
	v_fma_f64 v[171:172], v[171:172], v[153:154], v[155:156]
	ds_load_b128 v[153:156], v245 offset:9152
	v_fma_f64 v[149:150], v[149:150], v[157:158], -v[90:91]
	v_fma_f64 v[151:152], v[151:152], v[157:158], v[159:160]
	ds_load_b128 v[157:160], v245 offset:11440
	s_waitcnt vmcnt(1) lgkmcnt(1)
	v_mul_f64 v[90:91], v[155:156], v[163:164]
	v_mul_f64 v[163:164], v[153:154], v[163:164]
	s_delay_alu instid0(VALU_DEP_2) | instskip(NEXT) | instid1(VALU_DEP_2)
	v_fma_f64 v[153:154], v[153:154], v[161:162], -v[90:91]
	v_fma_f64 v[155:156], v[155:156], v[161:162], v[163:164]
	global_load_b128 v[161:164], v[177:178], off offset:2512
	s_waitcnt vmcnt(1) lgkmcnt(0)
	v_mul_f64 v[90:91], v[159:160], v[167:168]
	v_mul_f64 v[167:168], v[157:158], v[167:168]
	s_delay_alu instid0(VALU_DEP_2) | instskip(NEXT) | instid1(VALU_DEP_2)
	v_fma_f64 v[157:158], v[157:158], v[165:166], -v[90:91]
	v_fma_f64 v[159:160], v[159:160], v[165:166], v[167:168]
	global_load_b128 v[165:168], v[185:186], off offset:704
	ds_load_b128 v[177:180], v245 offset:13728
	ds_load_b128 v[181:184], v245 offset:16016
	s_waitcnt vmcnt(1) lgkmcnt(1)
	v_mul_f64 v[90:91], v[179:180], v[163:164]
	v_mul_f64 v[163:164], v[177:178], v[163:164]
	s_delay_alu instid0(VALU_DEP_2) | instskip(NEXT) | instid1(VALU_DEP_2)
	v_fma_f64 v[177:178], v[177:178], v[161:162], -v[90:91]
	v_fma_f64 v[179:180], v[179:180], v[161:162], v[163:164]
	s_waitcnt vmcnt(0) lgkmcnt(0)
	v_mul_f64 v[90:91], v[183:184], v[167:168]
	v_mul_f64 v[163:164], v[181:182], v[167:168]
	s_delay_alu instid0(VALU_DEP_2) | instskip(NEXT) | instid1(VALU_DEP_2)
	v_fma_f64 v[161:162], v[181:182], v[165:166], -v[90:91]
	v_fma_f64 v[163:164], v[183:184], v[165:166], v[163:164]
	global_load_b128 v[165:168], v[185:186], off offset:2992
	v_add_co_u32 v90, s0, 0xc000, v88
	s_delay_alu instid0(VALU_DEP_1) | instskip(SKIP_1) | instid1(VALU_DEP_1)
	v_add_co_ci_u32_e64 v91, s0, 0, v89, s0
	v_add_co_u32 v197, s0, 0xd000, v88
	v_add_co_ci_u32_e64 v198, s0, 0, v89, s0
	global_load_b128 v[181:184], v[90:91], off offset:1184
	ds_load_b128 v[185:188], v245 offset:18304
	ds_load_b128 v[189:192], v245 offset:20592
	s_waitcnt vmcnt(1) lgkmcnt(1)
	v_mul_f64 v[193:194], v[187:188], v[167:168]
	v_mul_f64 v[167:168], v[185:186], v[167:168]
	s_delay_alu instid0(VALU_DEP_2) | instskip(NEXT) | instid1(VALU_DEP_2)
	v_fma_f64 v[185:186], v[185:186], v[165:166], -v[193:194]
	v_fma_f64 v[187:188], v[187:188], v[165:166], v[167:168]
	s_waitcnt vmcnt(0) lgkmcnt(0)
	v_mul_f64 v[165:166], v[191:192], v[183:184]
	v_mul_f64 v[167:168], v[189:190], v[183:184]
	s_delay_alu instid0(VALU_DEP_2) | instskip(NEXT) | instid1(VALU_DEP_2)
	v_fma_f64 v[165:166], v[189:190], v[181:182], -v[165:166]
	v_fma_f64 v[167:168], v[191:192], v[181:182], v[167:168]
	s_clause 0x1
	global_load_b128 v[88:91], v[90:91], off offset:3472
	global_load_b128 v[181:184], v[197:198], off offset:1664
	ds_load_b128 v[189:192], v245 offset:22880
	ds_load_b128 v[193:196], v245 offset:25168
	s_waitcnt vmcnt(1) lgkmcnt(1)
	v_mul_f64 v[199:200], v[191:192], v[90:91]
	v_mul_f64 v[90:91], v[189:190], v[90:91]
	s_delay_alu instid0(VALU_DEP_2) | instskip(NEXT) | instid1(VALU_DEP_2)
	v_fma_f64 v[189:190], v[189:190], v[88:89], -v[199:200]
	v_fma_f64 v[191:192], v[191:192], v[88:89], v[90:91]
	s_waitcnt vmcnt(0) lgkmcnt(0)
	v_mul_f64 v[88:89], v[195:196], v[183:184]
	v_mul_f64 v[90:91], v[193:194], v[183:184]
	s_delay_alu instid0(VALU_DEP_2) | instskip(NEXT) | instid1(VALU_DEP_2)
	v_fma_f64 v[88:89], v[193:194], v[181:182], -v[88:89]
	v_fma_f64 v[90:91], v[195:196], v[181:182], v[90:91]
	global_load_b128 v[181:184], v[197:198], off offset:3952
	ds_load_b128 v[193:196], v245 offset:27456
	s_waitcnt vmcnt(0) lgkmcnt(0)
	v_mul_f64 v[197:198], v[195:196], v[183:184]
	v_mul_f64 v[183:184], v[193:194], v[183:184]
	s_delay_alu instid0(VALU_DEP_2) | instskip(NEXT) | instid1(VALU_DEP_2)
	v_fma_f64 v[193:194], v[193:194], v[181:182], -v[197:198]
	v_fma_f64 v[195:196], v[195:196], v[181:182], v[183:184]
	ds_store_b128 v245, v[92:95]
	ds_store_b128 v245, v[173:176] offset:2288
	ds_store_b128 v245, v[169:172] offset:4576
	;; [unrolled: 1-line block ×12, first 2 shown]
.LBB0_13:
	s_or_b32 exec_lo, exec_lo, s1
	s_waitcnt lgkmcnt(0)
	s_barrier
	buffer_gl0_inv
	s_and_saveexec_b32 s0, vcc_lo
	s_cbranch_execz .LBB0_15
; %bb.14:
	ds_load_b128 v[104:107], v245
	ds_load_b128 v[112:115], v245 offset:2288
	ds_load_b128 v[120:123], v245 offset:4576
	;; [unrolled: 1-line block ×12, first 2 shown]
.LBB0_15:
	s_or_b32 exec_lo, exec_lo, s0
	s_waitcnt lgkmcnt(0)
	v_add_f64 v[203:204], v[114:115], -v[98:99]
	s_mov_b32 s28, 0x4267c47c
	s_mov_b32 s29, 0xbfddbe06
	v_add_f64 v[197:198], v[112:113], v[96:97]
	v_add_f64 v[163:164], v[122:123], -v[102:103]
	s_mov_b32 s0, 0xe00740e9
	s_mov_b32 s8, 0x42a4c3d2
	;; [unrolled: 1-line block ×4, first 2 shown]
	v_add_f64 v[149:150], v[120:121], v[100:101]
	v_add_f64 v[221:222], v[114:115], v[98:99]
	v_add_f64 v[215:216], v[112:113], -v[96:97]
	v_add_f64 v[161:162], v[122:123], v[102:103]
	v_add_f64 v[153:154], v[120:121], -v[100:101]
	v_add_f64 v[181:182], v[130:131], -v[110:111]
	s_mov_b32 s16, 0x66966769
	s_mov_b32 s17, 0xbfefc445
	v_add_f64 v[157:158], v[128:129], v[108:109]
	v_add_f64 v[173:174], v[130:131], v[110:111]
	s_mov_b32 s10, 0xebaa3ed8
	s_mov_b32 s11, 0x3fbedb7d
	v_add_f64 v[169:170], v[128:129], -v[108:109]
	v_add_f64 v[205:206], v[134:135], -v[118:119]
	s_mov_b32 s31, 0xbfedeba7
	s_mov_b32 s30, 0x2ef20147
	v_add_f64 v[165:166], v[132:133], v[116:117]
	v_add_f64 v[195:196], v[134:135], v[118:119]
	s_mov_b32 s18, 0xb2365da1
	s_mov_b32 s19, 0xbfd6b1d8
	v_add_f64 v[211:212], v[132:133], -v[116:117]
	v_add_f64 v[209:210], v[138:139], -v[126:127]
	s_mov_b32 s34, 0x24c2f84
	s_mov_b32 s35, 0x3fe5384d
	;; [unrolled: 1-line block ×4, first 2 shown]
	v_add_f64 v[177:178], v[136:137], v[124:125]
	v_add_f64 v[201:202], v[138:139], v[126:127]
	s_mov_b32 s20, 0xd0032e0c
	v_mul_f64 v[199:200], v[203:204], s[28:29]
	s_mov_b32 s21, 0xbfe7f3cc
	v_add_f64 v[187:188], v[136:137], -v[124:125]
	v_add_f64 v[213:214], v[142:143], -v[146:147]
	v_mul_f64 v[151:152], v[163:164], s[8:9]
	s_mov_b32 s26, 0x4bc48dbf
	s_mov_b32 s27, 0xbfcea1e5
	v_add_f64 v[183:184], v[140:141], v[144:145]
	v_add_f64 v[207:208], v[142:143], v[146:147]
	v_add_f64 v[191:192], v[140:141], -v[144:145]
	v_mul_f64 v[217:218], v[221:222], s[0:1]
	v_mul_f64 v[241:242], v[203:204], s[8:9]
	;; [unrolled: 1-line block ×7, first 2 shown]
	s_mov_b32 s39, 0x3fefc445
	v_mul_f64 v[171:172], v[173:174], s[10:11]
	v_mul_f64 v[235:236], v[173:174], s[24:25]
	s_mov_b32 s38, s16
	s_mov_b32 s37, 0x3fddbe06
	v_mul_f64 v[167:168], v[205:206], s[30:31]
	s_mov_b32 s36, s28
	s_barrier
	v_mul_f64 v[175:176], v[195:196], s[18:19]
	v_mul_f64 v[233:234], v[195:196], s[20:21]
	buffer_gl0_inv
	v_mul_f64 v[179:180], v[209:210], s[22:23]
	v_mul_f64 v[189:190], v[201:202], s[20:21]
	;; [unrolled: 1-line block ×3, first 2 shown]
	v_fma_f64 v[88:89], v[197:198], s[0:1], -v[199:200]
	v_mul_f64 v[40:41], v[213:214], s[26:27]
	v_fma_f64 v[90:91], v[149:150], s[2:3], -v[151:152]
	v_mul_f64 v[193:194], v[207:208], s[24:25]
	v_fma_f64 v[92:93], v[153:154], s[8:9], v[155:156]
	v_fma_f64 v[94:95], v[149:150], s[18:19], -v[219:220]
	v_fma_f64 v[225:226], v[153:154], s[30:31], v[223:224]
	v_add_f64 v[88:89], v[104:105], v[88:89]
	s_delay_alu instid0(VALU_DEP_1) | instskip(SKIP_1) | instid1(VALU_DEP_1)
	v_add_f64 v[88:89], v[90:91], v[88:89]
	v_fma_f64 v[90:91], v[215:216], s[28:29], v[217:218]
	v_add_f64 v[90:91], v[106:107], v[90:91]
	s_delay_alu instid0(VALU_DEP_1) | instskip(SKIP_1) | instid1(VALU_DEP_1)
	v_add_f64 v[90:91], v[92:93], v[90:91]
	v_fma_f64 v[92:93], v[157:158], s[10:11], -v[159:160]
	v_add_f64 v[88:89], v[92:93], v[88:89]
	v_fma_f64 v[92:93], v[169:170], s[16:17], v[171:172]
	s_delay_alu instid0(VALU_DEP_1) | instskip(SKIP_1) | instid1(VALU_DEP_1)
	v_add_f64 v[90:91], v[92:93], v[90:91]
	v_fma_f64 v[92:93], v[165:166], s[18:19], -v[167:168]
	v_add_f64 v[88:89], v[92:93], v[88:89]
	v_fma_f64 v[92:93], v[211:212], s[30:31], v[175:176]
	;; [unrolled: 5-line block ×4, first 2 shown]
	s_delay_alu instid0(VALU_DEP_1) | instskip(SKIP_1) | instid1(VALU_DEP_1)
	v_add_f64 v[90:91], v[92:93], v[90:91]
	v_fma_f64 v[92:93], v[197:198], s[2:3], -v[241:242]
	v_add_f64 v[92:93], v[104:105], v[92:93]
	s_delay_alu instid0(VALU_DEP_1) | instskip(SKIP_1) | instid1(VALU_DEP_1)
	v_add_f64 v[92:93], v[94:95], v[92:93]
	v_fma_f64 v[94:95], v[215:216], s[8:9], v[243:244]
	v_add_f64 v[94:95], v[106:107], v[94:95]
	s_delay_alu instid0(VALU_DEP_1) | instskip(SKIP_1) | instid1(VALU_DEP_1)
	v_add_f64 v[94:95], v[225:226], v[94:95]
	v_mul_f64 v[225:226], v[181:182], s[26:27]
	v_fma_f64 v[227:228], v[157:158], s[24:25], -v[225:226]
	s_delay_alu instid0(VALU_DEP_1) | instskip(SKIP_1) | instid1(VALU_DEP_1)
	v_add_f64 v[92:93], v[227:228], v[92:93]
	v_fma_f64 v[227:228], v[169:170], s[26:27], v[235:236]
	v_add_f64 v[94:95], v[227:228], v[94:95]
	v_mul_f64 v[227:228], v[205:206], s[34:35]
	s_delay_alu instid0(VALU_DEP_1) | instskip(NEXT) | instid1(VALU_DEP_1)
	v_fma_f64 v[229:230], v[165:166], s[20:21], -v[227:228]
	v_add_f64 v[92:93], v[229:230], v[92:93]
	v_fma_f64 v[229:230], v[211:212], s[34:35], v[233:234]
	s_delay_alu instid0(VALU_DEP_1) | instskip(SKIP_1) | instid1(VALU_DEP_1)
	v_add_f64 v[94:95], v[229:230], v[94:95]
	v_mul_f64 v[229:230], v[209:210], s[38:39]
	v_fma_f64 v[231:232], v[177:178], s[10:11], -v[229:230]
	s_delay_alu instid0(VALU_DEP_1) | instskip(SKIP_1) | instid1(VALU_DEP_1)
	v_add_f64 v[92:93], v[231:232], v[92:93]
	v_fma_f64 v[231:232], v[187:188], s[38:39], v[237:238]
	v_add_f64 v[94:95], v[231:232], v[94:95]
	v_mul_f64 v[231:232], v[213:214], s[36:37]
	s_delay_alu instid0(VALU_DEP_1) | instskip(NEXT) | instid1(VALU_DEP_1)
	v_fma_f64 v[239:240], v[183:184], s[0:1], -v[231:232]
	v_add_f64 v[92:93], v[239:240], v[92:93]
	v_mul_f64 v[239:240], v[207:208], s[0:1]
	s_delay_alu instid0(VALU_DEP_1) | instskip(NEXT) | instid1(VALU_DEP_1)
	v_fma_f64 v[249:250], v[191:192], s[36:37], v[239:240]
	v_add_f64 v[94:95], v[249:250], v[94:95]
	s_and_saveexec_b32 s33, vcc_lo
	s_cbranch_execz .LBB0_17
; %bb.16:
	v_add_f64 v[112:113], v[104:105], v[112:113]
	v_add_f64 v[114:115], v[106:107], v[114:115]
	s_mov_b32 s41, 0x3fcea1e5
	s_mov_b32 s40, s26
	v_mul_f64 v[249:250], v[213:214], s[22:23]
	v_mul_f64 v[251:252], v[153:154], s[34:35]
	v_dual_mov_b32 v186, v180 :: v_dual_mov_b32 v185, v179
	v_dual_mov_b32 v180, v168 :: v_dual_mov_b32 v179, v167
	;; [unrolled: 1-line block ×4, first 2 shown]
	v_add_f64 v[112:113], v[112:113], v[120:121]
	v_add_f64 v[114:115], v[114:115], v[122:123]
	v_mul_f64 v[122:123], v[197:198], s[2:3]
	v_mul_f64 v[120:121], v[215:216], s[8:9]
	s_delay_alu instid0(VALU_DEP_4) | instskip(NEXT) | instid1(VALU_DEP_4)
	v_add_f64 v[112:113], v[112:113], v[128:129]
	v_add_f64 v[114:115], v[114:115], v[130:131]
	v_mul_f64 v[128:129], v[203:204], s[22:23]
	v_mul_f64 v[130:131], v[203:204], s[30:31]
	v_add_f64 v[122:123], v[122:123], v[241:242]
	v_add_f64 v[120:121], v[243:244], -v[120:121]
	v_mul_f64 v[241:242], v[213:214], s[38:39]
	v_mul_f64 v[243:244], v[213:214], s[30:31]
	v_add_f64 v[112:113], v[112:113], v[132:133]
	v_add_f64 v[114:115], v[114:115], v[134:135]
	v_mul_f64 v[132:133], v[203:204], s[16:17]
	s_delay_alu instid0(VALU_DEP_3) | instskip(NEXT) | instid1(VALU_DEP_3)
	v_add_f64 v[112:113], v[112:113], v[136:137]
	v_add_f64 v[114:115], v[114:115], v[138:139]
	v_fma_f64 v[136:137], v[197:198], s[20:21], -v[128:129]
	v_fma_f64 v[128:129], v[197:198], s[20:21], v[128:129]
	v_fma_f64 v[138:139], v[197:198], s[18:19], -v[130:131]
	v_fma_f64 v[130:131], v[197:198], s[18:19], v[130:131]
	v_add_f64 v[112:113], v[112:113], v[140:141]
	v_add_f64 v[114:115], v[114:115], v[142:143]
	v_mul_f64 v[142:143], v[197:198], s[0:1]
	v_fma_f64 v[140:141], v[197:198], s[10:11], -v[132:133]
	v_fma_f64 v[132:133], v[197:198], s[10:11], v[132:133]
	v_add_f64 v[136:137], v[104:105], v[136:137]
	v_add_f64 v[128:129], v[104:105], v[128:129]
	;; [unrolled: 1-line block ×8, first 2 shown]
	s_delay_alu instid0(VALU_DEP_4) | instskip(NEXT) | instid1(VALU_DEP_4)
	v_add_f64 v[112:113], v[112:113], v[124:125]
	v_add_f64 v[114:115], v[114:115], v[126:127]
	v_mul_f64 v[126:127], v[203:204], s[26:27]
	v_mul_f64 v[124:125], v[215:216], s[28:29]
	v_add_f64 v[142:143], v[104:105], v[142:143]
	s_mov_b32 s29, 0x3fea55e2
	s_mov_b32 s28, s8
	s_delay_alu instid0(SALU_CYCLE_1)
	v_mul_f64 v[213:214], v[213:214], s[28:29]
	v_mul_f64 v[246:247], v[191:192], s[28:29]
	v_add_f64 v[112:113], v[112:113], v[116:117]
	v_add_f64 v[114:115], v[114:115], v[118:119]
	v_mul_f64 v[116:117], v[215:216], s[16:17]
	v_fma_f64 v[134:135], v[197:198], s[24:25], -v[126:127]
	v_fma_f64 v[126:127], v[197:198], s[24:25], v[126:127]
	v_add_f64 v[124:125], v[217:218], -v[124:125]
	v_add_f64 v[108:109], v[112:113], v[108:109]
	v_add_f64 v[110:111], v[114:115], v[110:111]
	v_mul_f64 v[112:113], v[215:216], s[30:31]
	v_fma_f64 v[118:119], v[221:222], s[10:11], v[116:117]
	v_add_f64 v[134:135], v[104:105], v[134:135]
	v_add_f64 v[126:127], v[104:105], v[126:127]
	v_fma_f64 v[116:117], v[221:222], s[10:11], -v[116:117]
	v_add_f64 v[100:101], v[108:109], v[100:101]
	v_add_f64 v[102:103], v[110:111], v[102:103]
	v_mul_f64 v[108:109], v[215:216], s[22:23]
	v_fma_f64 v[114:115], v[221:222], s[18:19], v[112:113]
	v_add_f64 v[203:204], v[106:107], v[118:119]
	v_add_f64 v[118:119], v[104:105], v[132:133]
	v_fma_f64 v[112:113], v[221:222], s[18:19], -v[112:113]
	v_add_f64 v[116:117], v[106:107], v[116:117]
	v_add_f64 v[96:97], v[100:101], v[96:97]
	v_mul_f64 v[100:101], v[215:216], s[26:27]
	v_add_f64 v[98:99], v[102:103], v[98:99]
	v_fma_f64 v[110:111], v[221:222], s[20:21], v[108:109]
	v_fma_f64 v[108:109], v[221:222], s[20:21], -v[108:109]
	v_add_f64 v[197:198], v[106:107], v[114:115]
	v_add_f64 v[114:115], v[104:105], v[122:123]
	v_mul_f64 v[104:105], v[153:154], s[36:37]
	v_add_f64 v[199:200], v[106:107], v[112:113]
	v_add_f64 v[112:113], v[106:107], v[120:121]
	;; [unrolled: 1-line block ×3, first 2 shown]
	v_fma_f64 v[102:103], v[221:222], s[24:25], v[100:101]
	v_fma_f64 v[100:101], v[221:222], s[24:25], -v[100:101]
	v_add_f64 v[110:111], v[106:107], v[110:111]
	v_add_f64 v[146:147], v[106:107], v[108:109]
	v_mul_f64 v[108:109], v[169:170], s[22:23]
	v_mul_f64 v[221:222], v[191:192], s[38:39]
	v_add_f64 v[102:103], v[106:107], v[102:103]
	v_add_f64 v[144:145], v[106:107], v[100:101]
	v_fma_f64 v[100:101], v[161:162], s[0:1], v[104:105]
	v_mul_f64 v[106:107], v[163:164], s[36:37]
	v_fma_f64 v[120:121], v[173:174], s[20:21], v[108:109]
	v_fma_f64 v[104:105], v[161:162], s[0:1], -v[104:105]
	v_fma_f64 v[108:109], v[173:174], s[20:21], -v[108:109]
	v_add_f64 v[100:101], v[100:101], v[102:103]
	v_fma_f64 v[102:103], v[149:150], s[0:1], -v[106:107]
	v_fma_f64 v[106:107], v[149:150], s[0:1], v[106:107]
	v_add_f64 v[104:105], v[104:105], v[144:145]
	v_mul_f64 v[144:145], v[205:206], s[40:41]
	v_add_f64 v[100:101], v[120:121], v[100:101]
	v_mul_f64 v[120:121], v[181:182], s[22:23]
	v_add_f64 v[102:103], v[102:103], v[134:135]
	v_add_f64 v[106:107], v[106:107], v[126:127]
	;; [unrolled: 1-line block ×3, first 2 shown]
	v_mul_f64 v[126:127], v[163:164], s[38:39]
	v_fma_f64 v[122:123], v[157:158], s[20:21], -v[120:121]
	v_fma_f64 v[108:109], v[157:158], s[20:21], v[120:121]
	v_fma_f64 v[120:121], v[183:184], s[10:11], v[241:242]
	s_delay_alu instid0(VALU_DEP_3) | instskip(SKIP_1) | instid1(VALU_DEP_4)
	v_add_f64 v[102:103], v[122:123], v[102:103]
	v_mul_f64 v[122:123], v[211:212], s[28:29]
	v_add_f64 v[106:107], v[108:109], v[106:107]
	s_delay_alu instid0(VALU_DEP_2) | instskip(SKIP_2) | instid1(VALU_DEP_3)
	v_fma_f64 v[124:125], v[195:196], s[2:3], v[122:123]
	v_fma_f64 v[108:109], v[195:196], s[2:3], -v[122:123]
	v_mul_f64 v[122:123], v[153:154], s[30:31]
	v_add_f64 v[100:101], v[124:125], v[100:101]
	v_mul_f64 v[124:125], v[205:206], s[28:29]
	s_delay_alu instid0(VALU_DEP_4) | instskip(NEXT) | instid1(VALU_DEP_4)
	v_add_f64 v[104:105], v[108:109], v[104:105]
	v_add_f64 v[122:123], v[223:224], -v[122:123]
	v_mul_f64 v[223:224], v[157:158], s[24:25]
	s_delay_alu instid0(VALU_DEP_4) | instskip(SKIP_2) | instid1(VALU_DEP_4)
	v_fma_f64 v[132:133], v[165:166], s[2:3], -v[124:125]
	v_fma_f64 v[108:109], v[165:166], s[2:3], v[124:125]
	v_mul_f64 v[124:125], v[153:154], s[38:39]
	v_add_f64 v[223:224], v[223:224], v[225:226]
	v_mul_f64 v[225:226], v[149:150], s[18:19]
	v_add_f64 v[112:113], v[122:123], v[112:113]
	;; [unrolled: 2-line block ×4, first 2 shown]
	v_add_f64 v[219:220], v[225:226], v[219:220]
	v_mul_f64 v[225:226], v[211:212], s[34:35]
	v_add_f64 v[122:123], v[122:123], v[229:230]
	v_fma_f64 v[134:135], v[201:202], s[18:19], v[132:133]
	v_fma_f64 v[108:109], v[201:202], s[18:19], -v[132:133]
	v_mul_f64 v[132:133], v[169:170], s[8:9]
	v_add_f64 v[114:115], v[219:220], v[114:115]
	v_add_f64 v[225:226], v[233:234], -v[225:226]
	v_mul_f64 v[233:234], v[165:166], s[20:21]
	v_mul_f64 v[219:220], v[183:184], s[0:1]
	v_add_f64 v[100:101], v[134:135], v[100:101]
	v_mul_f64 v[134:135], v[209:210], s[30:31]
	v_add_f64 v[104:105], v[108:109], v[104:105]
	v_add_f64 v[114:115], v[223:224], v[114:115]
	v_mul_f64 v[223:224], v[163:164], s[26:27]
	v_add_f64 v[227:228], v[233:234], v[227:228]
	v_mul_f64 v[233:234], v[187:188], s[38:39]
	v_add_f64 v[219:220], v[219:220], v[231:232]
	v_mul_f64 v[231:232], v[211:212], s[36:37]
	v_mul_f64 v[163:164], v[163:164], s[34:35]
	v_fma_f64 v[108:109], v[177:178], s[18:19], v[134:135]
	v_fma_f64 v[217:218], v[177:178], s[18:19], -v[134:135]
	v_mul_f64 v[134:135], v[181:182], s[8:9]
	v_add_f64 v[114:115], v[227:228], v[114:115]
	v_add_f64 v[233:234], v[237:238], -v[233:234]
	v_mul_f64 v[237:238], v[209:210], s[8:9]
	v_add_f64 v[108:109], v[108:109], v[106:107]
	v_fma_f64 v[106:107], v[207:208], s[10:11], -v[221:222]
	v_add_f64 v[217:218], v[217:218], v[102:103]
	v_fma_f64 v[102:103], v[207:208], s[10:11], v[221:222]
	v_mul_f64 v[221:222], v[209:210], s[36:37]
	v_add_f64 v[122:123], v[122:123], v[114:115]
	v_mul_f64 v[209:210], v[209:210], s[40:41]
	v_add_f64 v[106:107], v[106:107], v[104:105]
	v_add_f64 v[104:105], v[120:121], v[108:109]
	v_fma_f64 v[108:109], v[161:162], s[10:11], v[124:125]
	v_fma_f64 v[120:121], v[173:174], s[2:3], v[132:133]
	v_add_f64 v[102:103], v[102:103], v[100:101]
	v_fma_f64 v[100:101], v[183:184], s[10:11], -v[241:242]
	v_mul_f64 v[241:242], v[191:192], s[30:31]
	v_fma_f64 v[124:125], v[161:162], s[10:11], -v[124:125]
	v_add_f64 v[108:109], v[108:109], v[110:111]
	v_fma_f64 v[110:111], v[149:150], s[10:11], -v[126:127]
	v_fma_f64 v[126:127], v[149:150], s[10:11], v[126:127]
	v_add_f64 v[100:101], v[100:101], v[217:218]
	v_mul_f64 v[217:218], v[187:188], s[36:37]
	v_add_f64 v[124:125], v[124:125], v[146:147]
	v_fma_f64 v[146:147], v[149:150], s[24:25], -v[223:224]
	v_add_f64 v[108:109], v[120:121], v[108:109]
	v_add_f64 v[110:111], v[110:111], v[136:137]
	v_fma_f64 v[120:121], v[157:158], s[2:3], -v[134:135]
	v_mul_f64 v[136:137], v[211:212], s[40:41]
	v_add_f64 v[126:127], v[126:127], v[128:129]
	v_fma_f64 v[128:129], v[173:174], s[2:3], -v[132:133]
	v_fma_f64 v[132:133], v[183:184], s[18:19], v[243:244]
	v_add_f64 v[140:141], v[146:147], v[140:141]
	v_add_f64 v[110:111], v[120:121], v[110:111]
	v_fma_f64 v[120:121], v[195:196], s[24:25], v[136:137]
	v_add_f64 v[124:125], v[128:129], v[124:125]
	v_fma_f64 v[128:129], v[157:158], s[2:3], v[134:135]
	v_fma_f64 v[134:135], v[183:184], s[2:3], -v[213:214]
	s_delay_alu instid0(VALU_DEP_4) | instskip(SKIP_1) | instid1(VALU_DEP_4)
	v_add_f64 v[108:109], v[120:121], v[108:109]
	v_fma_f64 v[120:121], v[165:166], s[24:25], -v[144:145]
	v_add_f64 v[126:127], v[128:129], v[126:127]
	v_fma_f64 v[128:129], v[195:196], s[24:25], -v[136:137]
	s_delay_alu instid0(VALU_DEP_3) | instskip(SKIP_1) | instid1(VALU_DEP_3)
	v_add_f64 v[110:111], v[120:121], v[110:111]
	v_fma_f64 v[120:121], v[201:202], s[0:1], v[217:218]
	v_add_f64 v[124:125], v[128:129], v[124:125]
	v_fma_f64 v[128:129], v[165:166], s[24:25], v[144:145]
	s_delay_alu instid0(VALU_DEP_3) | instskip(SKIP_1) | instid1(VALU_DEP_3)
	v_add_f64 v[108:109], v[120:121], v[108:109]
	v_fma_f64 v[120:121], v[177:178], s[0:1], -v[221:222]
	v_add_f64 v[126:127], v[128:129], v[126:127]
	v_fma_f64 v[128:129], v[201:202], s[0:1], -v[217:218]
	s_delay_alu instid0(VALU_DEP_3) | instskip(SKIP_1) | instid1(VALU_DEP_3)
	v_add_f64 v[120:121], v[120:121], v[110:111]
	v_fma_f64 v[110:111], v[207:208], s[18:19], v[241:242]
	v_add_f64 v[124:125], v[128:129], v[124:125]
	v_fma_f64 v[128:129], v[177:178], s[0:1], v[221:222]
	s_delay_alu instid0(VALU_DEP_3) | instskip(SKIP_1) | instid1(VALU_DEP_3)
	v_add_f64 v[110:111], v[110:111], v[108:109]
	v_fma_f64 v[108:109], v[183:184], s[18:19], -v[243:244]
	v_add_f64 v[128:129], v[128:129], v[126:127]
	v_fma_f64 v[126:127], v[207:208], s[18:19], -v[241:242]
	s_delay_alu instid0(VALU_DEP_3) | instskip(SKIP_1) | instid1(VALU_DEP_3)
	v_add_f64 v[108:109], v[108:109], v[120:121]
	v_mul_f64 v[120:121], v[169:170], s[26:27]
	v_add_f64 v[126:127], v[126:127], v[124:125]
	v_add_f64 v[124:125], v[132:133], v[128:129]
	v_fma_f64 v[128:129], v[161:162], s[20:21], v[251:252]
	v_fma_f64 v[132:133], v[149:150], s[20:21], -v[163:164]
	v_add_f64 v[120:121], v[235:236], -v[120:121]
	v_mul_f64 v[235:236], v[187:188], s[8:9]
	s_delay_alu instid0(VALU_DEP_4) | instskip(NEXT) | instid1(VALU_DEP_4)
	v_add_f64 v[128:129], v[128:129], v[197:198]
	v_add_f64 v[132:133], v[132:133], v[138:139]
	s_delay_alu instid0(VALU_DEP_4) | instskip(SKIP_2) | instid1(VALU_DEP_3)
	v_add_f64 v[112:113], v[120:121], v[112:113]
	v_mul_f64 v[120:121], v[191:192], s[36:37]
	v_fma_f64 v[136:137], v[201:202], s[2:3], v[235:236]
	v_add_f64 v[112:113], v[225:226], v[112:113]
	s_delay_alu instid0(VALU_DEP_3)
	v_add_f64 v[120:121], v[239:240], -v[120:121]
	v_mul_f64 v[225:226], v[211:212], s[30:31]
	s_mov_b32 s31, 0x3fedeba7
	v_mul_f64 v[239:240], v[191:192], s[22:23]
	v_mul_f64 v[227:228], v[169:170], s[30:31]
	;; [unrolled: 1-line block ×4, first 2 shown]
	v_add_f64 v[112:113], v[233:234], v[112:113]
	v_mul_f64 v[233:234], v[205:206], s[36:37]
	v_mul_f64 v[205:206], v[205:206], s[16:17]
	v_add_f64 v[146:147], v[175:176], -v[225:226]
	v_fma_f64 v[138:139], v[207:208], s[20:21], v[239:240]
	v_fma_f64 v[144:145], v[173:174], s[18:19], v[227:228]
	v_add_f64 v[114:115], v[120:121], v[112:113]
	v_add_f64 v[112:113], v[219:220], v[122:123]
	v_mul_f64 v[219:220], v[153:154], s[26:27]
	v_fma_f64 v[122:123], v[149:150], s[20:21], v[163:164]
	s_delay_alu instid0(VALU_DEP_2) | instskip(NEXT) | instid1(VALU_DEP_2)
	v_fma_f64 v[120:121], v[161:162], s[24:25], -v[219:220]
	v_add_f64 v[122:123], v[122:123], v[130:131]
	v_mul_f64 v[130:131], v[169:170], s[36:37]
	s_delay_alu instid0(VALU_DEP_3) | instskip(SKIP_1) | instid1(VALU_DEP_1)
	v_add_f64 v[116:117], v[120:121], v[116:117]
	v_fma_f64 v[120:121], v[149:150], s[24:25], v[223:224]
	v_add_f64 v[118:119], v[120:121], v[118:119]
	v_fma_f64 v[120:121], v[173:174], s[18:19], -v[227:228]
	s_delay_alu instid0(VALU_DEP_1) | instskip(SKIP_1) | instid1(VALU_DEP_1)
	v_add_f64 v[116:117], v[120:121], v[116:117]
	v_fma_f64 v[120:121], v[157:158], s[18:19], v[229:230]
	v_add_f64 v[118:119], v[120:121], v[118:119]
	v_fma_f64 v[120:121], v[195:196], s[0:1], -v[231:232]
	s_delay_alu instid0(VALU_DEP_1) | instskip(SKIP_1) | instid1(VALU_DEP_1)
	;; [unrolled: 5-line block ×4, first 2 shown]
	v_add_f64 v[118:119], v[118:119], v[116:117]
	v_fma_f64 v[116:117], v[183:184], s[20:21], v[249:250]
	v_add_f64 v[116:117], v[116:117], v[120:121]
	v_fma_f64 v[120:121], v[161:162], s[20:21], -v[251:252]
	s_delay_alu instid0(VALU_DEP_1) | instskip(SKIP_2) | instid1(VALU_DEP_2)
	v_add_f64 v[120:121], v[120:121], v[199:200]
	v_fma_f64 v[199:200], v[173:174], s[0:1], -v[130:131]
	v_fma_f64 v[130:131], v[173:174], s[0:1], v[130:131]
	v_add_f64 v[120:121], v[199:200], v[120:121]
	v_fma_f64 v[199:200], v[157:158], s[0:1], v[181:182]
	s_delay_alu instid0(VALU_DEP_3) | instskip(SKIP_1) | instid1(VALU_DEP_3)
	v_add_f64 v[128:129], v[130:131], v[128:129]
	v_fma_f64 v[130:131], v[157:158], s[0:1], -v[181:182]
	v_add_f64 v[122:123], v[199:200], v[122:123]
	v_mul_f64 v[199:200], v[211:212], s[16:17]
	s_delay_alu instid0(VALU_DEP_3) | instskip(NEXT) | instid1(VALU_DEP_2)
	v_add_f64 v[130:131], v[130:131], v[132:133]
	v_fma_f64 v[211:212], v[195:196], s[10:11], -v[199:200]
	v_fma_f64 v[132:133], v[195:196], s[10:11], v[199:200]
	s_delay_alu instid0(VALU_DEP_2) | instskip(SKIP_1) | instid1(VALU_DEP_3)
	v_add_f64 v[120:121], v[211:212], v[120:121]
	v_fma_f64 v[211:212], v[165:166], s[10:11], v[205:206]
	v_add_f64 v[128:129], v[132:133], v[128:129]
	v_fma_f64 v[132:133], v[165:166], s[10:11], -v[205:206]
	s_delay_alu instid0(VALU_DEP_3) | instskip(SKIP_1) | instid1(VALU_DEP_3)
	v_add_f64 v[122:123], v[211:212], v[122:123]
	v_mul_f64 v[211:212], v[187:188], s[40:41]
	v_add_f64 v[130:131], v[132:133], v[130:131]
	s_delay_alu instid0(VALU_DEP_2) | instskip(SKIP_1) | instid1(VALU_DEP_2)
	v_fma_f64 v[132:133], v[201:202], s[24:25], v[211:212]
	v_fma_f64 v[253:254], v[201:202], s[24:25], -v[211:212]
	v_add_f64 v[128:129], v[132:133], v[128:129]
	v_fma_f64 v[132:133], v[177:178], s[24:25], -v[209:210]
	s_delay_alu instid0(VALU_DEP_3) | instskip(SKIP_1) | instid1(VALU_DEP_3)
	v_add_f64 v[120:121], v[253:254], v[120:121]
	v_fma_f64 v[253:254], v[177:178], s[24:25], v[209:210]
	v_add_f64 v[132:133], v[132:133], v[130:131]
	v_fma_f64 v[130:131], v[207:208], s[2:3], v[246:247]
	s_delay_alu instid0(VALU_DEP_3) | instskip(SKIP_1) | instid1(VALU_DEP_3)
	v_add_f64 v[253:254], v[253:254], v[122:123]
	v_fma_f64 v[122:123], v[207:208], s[2:3], -v[246:247]
	v_add_f64 v[130:131], v[130:131], v[128:129]
	v_add_f64 v[128:129], v[134:135], v[132:133]
	v_fma_f64 v[132:133], v[161:162], s[24:25], v[219:220]
	v_fma_f64 v[134:135], v[195:196], s[0:1], v[231:232]
	v_add_f64 v[122:123], v[122:123], v[120:121]
	v_fma_f64 v[120:121], v[183:184], s[2:3], v[213:214]
	s_delay_alu instid0(VALU_DEP_4) | instskip(NEXT) | instid1(VALU_DEP_2)
	v_add_f64 v[132:133], v[132:133], v[203:204]
	v_add_f64 v[120:121], v[120:121], v[253:254]
	v_mov_b32_e32 v254, v148
	v_mov_b32_e32 v148, v151
	v_mul_f64 v[151:152], v[187:188], s[22:23]
	v_add_f64 v[132:133], v[144:145], v[132:133]
	v_fma_f64 v[144:145], v[157:158], s[18:19], -v[229:230]
	s_delay_alu instid0(VALU_DEP_3) | instskip(NEXT) | instid1(VALU_DEP_3)
	v_add_f64 v[151:152], v[189:190], -v[151:152]
	v_add_f64 v[132:133], v[134:135], v[132:133]
	s_delay_alu instid0(VALU_DEP_3)
	v_add_f64 v[140:141], v[144:145], v[140:141]
	v_fma_f64 v[134:135], v[165:166], s[0:1], -v[233:234]
	v_mul_f64 v[144:145], v[149:150], s[2:3]
	v_mul_f64 v[149:150], v[165:166], s[18:19]
	v_add_f64 v[132:133], v[136:137], v[132:133]
	v_fma_f64 v[136:137], v[177:178], s[2:3], -v[237:238]
	v_add_f64 v[134:135], v[134:135], v[140:141]
	v_fma_f64 v[140:141], v[183:184], s[20:21], -v[249:250]
	v_add_f64 v[144:145], v[144:145], v[167:168]
	v_add_f64 v[149:150], v[149:150], v[179:180]
	s_delay_alu instid0(VALU_DEP_4)
	v_add_f64 v[136:137], v[136:137], v[134:135]
	v_add_f64 v[134:135], v[138:139], v[132:133]
	v_mul_f64 v[138:139], v[153:154], s[8:9]
	v_add_f64 v[142:143], v[144:145], v[142:143]
	v_mul_f64 v[144:145], v[177:178], s[20:21]
	;; [unrolled: 2-line block ×3, first 2 shown]
	v_add_f64 v[138:139], v[155:156], -v[138:139]
	v_mul_f64 v[140:141], v[157:158], s[10:11]
	v_add_f64 v[144:145], v[144:145], v[185:186]
	s_delay_alu instid0(VALU_DEP_4) | instskip(NEXT) | instid1(VALU_DEP_4)
	v_add_f64 v[136:137], v[171:172], -v[136:137]
	v_add_f64 v[138:139], v[138:139], v[215:216]
	s_delay_alu instid0(VALU_DEP_4) | instskip(NEXT) | instid1(VALU_DEP_2)
	v_add_f64 v[140:141], v[140:141], v[159:160]
	v_add_f64 v[136:137], v[136:137], v[138:139]
	s_delay_alu instid0(VALU_DEP_2) | instskip(SKIP_2) | instid1(VALU_DEP_4)
	v_add_f64 v[138:139], v[140:141], v[142:143]
	v_mul_f64 v[140:141], v[191:192], s[26:27]
	v_mul_f64 v[142:143], v[183:184], s[24:25]
	v_add_f64 v[136:137], v[146:147], v[136:137]
	s_delay_alu instid0(VALU_DEP_4) | instskip(NEXT) | instid1(VALU_DEP_4)
	v_add_f64 v[138:139], v[149:150], v[138:139]
	v_add_f64 v[140:141], v[193:194], -v[140:141]
	s_delay_alu instid0(VALU_DEP_4) | instskip(NEXT) | instid1(VALU_DEP_4)
	v_add_f64 v[142:143], v[142:143], v[40:41]
	v_add_f64 v[136:137], v[151:152], v[136:137]
	s_delay_alu instid0(VALU_DEP_4) | instskip(NEXT) | instid1(VALU_DEP_2)
	v_add_f64 v[144:145], v[144:145], v[138:139]
	v_add_f64 v[138:139], v[140:141], v[136:137]
	s_delay_alu instid0(VALU_DEP_2) | instskip(SKIP_1) | instid1(VALU_DEP_1)
	v_add_f64 v[136:137], v[142:143], v[144:145]
	v_and_b32_e32 v140, 0xffff, v255
	v_lshlrev_b32_e32 v140, 4, v140
	ds_store_b128 v140, v[112:115] offset:32
	ds_store_b128 v140, v[116:119] offset:48
	;; [unrolled: 1-line block ×11, first 2 shown]
	ds_store_b128 v140, v[96:99]
	ds_store_b128 v140, v[88:91] offset:192
.LBB0_17:
	s_or_b32 exec_lo, exec_lo, s33
	s_waitcnt lgkmcnt(0)
	s_barrier
	buffer_gl0_inv
	ds_load_b128 v[96:99], v245 offset:2704
	ds_load_b128 v[100:103], v245
	s_mov_b32 s22, 0xf8bb580b
	s_mov_b32 s38, 0x8eee2c13
	s_mov_b32 s36, 0x43842ef
	s_mov_b32 s18, 0xbb3a28a1
	s_mov_b32 s34, 0xfd768dbf
	s_mov_b32 s23, 0xbfe14ced
	s_mov_b32 s39, 0xbfed1bb4
	s_mov_b32 s37, 0xbfefac9e
	s_mov_b32 s19, 0xbfe82f19
	s_mov_b32 s35, 0xbfd207e7
	s_mov_b32 s16, 0x8764f0ba
	s_mov_b32 s8, 0xd9c712b6
	s_mov_b32 s10, 0x640f44db
	s_mov_b32 s2, 0x7f775887
	s_mov_b32 s0, 0x9bcd5057
	s_mov_b32 s17, 0x3feaeb8c
	s_mov_b32 s9, 0x3fda9628
	s_mov_b32 s11, 0xbfc2375f
	s_waitcnt lgkmcnt(1)
	v_mul_f64 v[104:105], v[2:3], v[98:99]
	v_mul_f64 v[2:3], v[2:3], v[96:97]
	s_mov_b32 s3, 0xbfe4f49e
	s_mov_b32 s1, 0xbfeeb42a
	s_mov_b32 s31, 0x3fe14ced
	s_mov_b32 s29, 0x3fed1bb4
	s_mov_b32 s27, 0x3fefac9e
	s_mov_b32 s25, 0x3fe82f19
	s_mov_b32 s21, 0x3fd207e7
	s_mov_b32 s30, s22
	s_mov_b32 s28, s38
	s_mov_b32 s26, s36
	s_mov_b32 s24, s18
	s_mov_b32 s20, s34
	s_delay_alu instid0(VALU_DEP_2) | instskip(NEXT) | instid1(VALU_DEP_2)
	v_fma_f64 v[104:105], v[0:1], v[96:97], v[104:105]
	v_fma_f64 v[106:107], v[0:1], v[98:99], -v[2:3]
	ds_load_b128 v[0:3], v245 offset:5408
	ds_load_b128 v[96:99], v245 offset:8112
	s_waitcnt lgkmcnt(1)
	v_mul_f64 v[108:109], v[38:39], v[0:1]
	s_delay_alu instid0(VALU_DEP_1) | instskip(SKIP_1) | instid1(VALU_DEP_1)
	v_fma_f64 v[108:109], v[36:37], v[2:3], -v[108:109]
	v_mul_f64 v[2:3], v[38:39], v[2:3]
	v_fma_f64 v[110:111], v[36:37], v[0:1], v[2:3]
	ds_load_b128 v[0:3], v245 offset:27040
	s_waitcnt lgkmcnt(0)
	v_mul_f64 v[36:37], v[30:31], v[0:1]
	s_delay_alu instid0(VALU_DEP_1) | instskip(SKIP_1) | instid1(VALU_DEP_1)
	v_fma_f64 v[112:113], v[28:29], v[2:3], -v[36:37]
	v_mul_f64 v[2:3], v[30:31], v[2:3]
	v_fma_f64 v[114:115], v[28:29], v[0:1], v[2:3]
	v_mul_f64 v[0:1], v[34:35], v[96:97]
	s_delay_alu instid0(VALU_DEP_1) | instskip(SKIP_1) | instid1(VALU_DEP_4)
	v_fma_f64 v[116:117], v[32:33], v[98:99], -v[0:1]
	v_mul_f64 v[0:1], v[34:35], v[98:99]
	v_add_f64 v[34:35], v[104:105], -v[114:115]
	s_delay_alu instid0(VALU_DEP_2) | instskip(SKIP_4) | instid1(VALU_DEP_1)
	v_fma_f64 v[118:119], v[32:33], v[96:97], v[0:1]
	ds_load_b128 v[0:3], v245 offset:24336
	ds_load_b128 v[28:31], v245 offset:21632
	s_waitcnt lgkmcnt(1)
	v_mul_f64 v[32:33], v[26:27], v[0:1]
	v_fma_f64 v[120:121], v[24:25], v[2:3], -v[32:33]
	v_mul_f64 v[2:3], v[26:27], v[2:3]
	s_delay_alu instid0(VALU_DEP_2) | instskip(NEXT) | instid1(VALU_DEP_2)
	v_add_f64 v[151:152], v[108:109], v[120:121]
	v_fma_f64 v[122:123], v[24:25], v[0:1], v[2:3]
	s_waitcnt lgkmcnt(0)
	v_mul_f64 v[0:1], v[22:23], v[28:29]
	s_delay_alu instid0(VALU_DEP_3) | instskip(NEXT) | instid1(VALU_DEP_3)
	v_mul_f64 v[155:156], v[151:152], s[8:9]
	v_add_f64 v[146:147], v[110:111], v[122:123]
	s_delay_alu instid0(VALU_DEP_3)
	v_fma_f64 v[124:125], v[20:21], v[30:31], -v[0:1]
	v_mul_f64 v[0:1], v[22:23], v[30:31]
	v_add_f64 v[153:154], v[110:111], -v[122:123]
	v_mul_f64 v[195:196], v[151:152], s[2:3]
	v_mul_f64 v[211:212], v[151:152], s[0:1]
	;; [unrolled: 1-line block ×3, first 2 shown]
	v_add_f64 v[157:158], v[116:117], -v[124:125]
	v_fma_f64 v[126:127], v[20:21], v[28:29], v[0:1]
	ds_load_b128 v[0:3], v245 offset:10816
	ds_load_b128 v[20:23], v245 offset:13520
	v_add_f64 v[163:164], v[116:117], v[124:125]
	s_waitcnt lgkmcnt(1)
	v_mul_f64 v[24:25], v[18:19], v[2:3]
	v_mul_f64 v[161:162], v[157:158], s[36:37]
	v_add_f64 v[159:160], v[118:119], v[126:127]
	v_add_f64 v[165:166], v[118:119], -v[126:127]
	v_mul_f64 v[167:168], v[163:164], s[10:11]
	v_mul_f64 v[197:198], v[157:158], s[20:21]
	;; [unrolled: 1-line block ×6, first 2 shown]
	v_fma_f64 v[128:129], v[16:17], v[0:1], v[24:25]
	v_mul_f64 v[0:1], v[18:19], v[0:1]
	s_delay_alu instid0(VALU_DEP_1)
	v_fma_f64 v[130:131], v[16:17], v[2:3], -v[0:1]
	ds_load_b128 v[0:3], v245 offset:18928
	ds_load_b128 v[16:19], v245 offset:16224
	s_waitcnt lgkmcnt(0)
	s_barrier
	buffer_gl0_inv
	v_mul_f64 v[24:25], v[14:15], v[2:3]
	s_delay_alu instid0(VALU_DEP_1) | instskip(SKIP_3) | instid1(VALU_DEP_4)
	v_fma_f64 v[132:133], v[12:13], v[0:1], v[24:25]
	v_mul_f64 v[0:1], v[14:15], v[0:1]
	v_add_f64 v[14:15], v[104:105], v[114:115]
	v_add_f64 v[104:105], v[100:101], v[104:105]
	;; [unrolled: 1-line block ×3, first 2 shown]
	s_delay_alu instid0(VALU_DEP_4) | instskip(SKIP_3) | instid1(VALU_DEP_4)
	v_fma_f64 v[0:1], v[12:13], v[2:3], -v[0:1]
	v_mul_f64 v[2:3], v[10:11], v[22:23]
	v_mul_f64 v[10:11], v[10:11], v[20:21]
	v_add_f64 v[177:178], v[128:129], -v[132:133]
	v_add_f64 v[169:170], v[130:131], -v[0:1]
	s_delay_alu instid0(VALU_DEP_4) | instskip(NEXT) | instid1(VALU_DEP_4)
	v_fma_f64 v[2:3], v[8:9], v[20:21], v[2:3]
	v_fma_f64 v[134:135], v[8:9], v[22:23], -v[10:11]
	v_mul_f64 v[8:9], v[6:7], v[18:19]
	v_mul_f64 v[6:7], v[6:7], v[16:17]
	v_add_f64 v[175:176], v[130:131], v[0:1]
	v_mul_f64 v[173:174], v[169:170], s[18:19]
	v_mul_f64 v[201:202], v[169:170], s[26:27]
	;; [unrolled: 1-line block ×3, first 2 shown]
	v_fma_f64 v[136:137], v[4:5], v[16:17], v[8:9]
	v_fma_f64 v[138:139], v[4:5], v[18:19], -v[6:7]
	v_add_f64 v[4:5], v[106:107], -v[112:113]
	v_mul_f64 v[179:180], v[175:176], s[2:3]
	v_mul_f64 v[203:204], v[175:176], s[10:11]
	;; [unrolled: 1-line block ×5, first 2 shown]
	v_add_f64 v[183:184], v[2:3], v[136:137]
	v_add_f64 v[181:182], v[134:135], -v[138:139]
	v_mul_f64 v[6:7], v[4:5], s[22:23]
	v_mul_f64 v[8:9], v[4:5], s[38:39]
	;; [unrolled: 1-line block ×5, first 2 shown]
	v_add_f64 v[187:188], v[134:135], v[138:139]
	v_add_f64 v[189:190], v[2:3], -v[136:137]
	v_mul_f64 v[185:186], v[181:182], s[34:35]
	v_fma_f64 v[16:17], v[14:15], s[16:17], v[6:7]
	v_fma_f64 v[6:7], v[14:15], s[16:17], -v[6:7]
	v_fma_f64 v[18:19], v[14:15], s[8:9], v[8:9]
	v_fma_f64 v[8:9], v[14:15], s[8:9], -v[8:9]
	;; [unrolled: 2-line block ×5, first 2 shown]
	v_add_f64 v[14:15], v[106:107], v[112:113]
	v_add_f64 v[106:107], v[102:103], v[106:107]
	v_mul_f64 v[191:192], v[187:188], s[0:1]
	v_mul_f64 v[205:206], v[181:182], s[30:31]
	;; [unrolled: 1-line block ×7, first 2 shown]
	v_add_f64 v[142:143], v[100:101], v[16:17]
	v_add_f64 v[6:7], v[100:101], v[6:7]
	;; [unrolled: 1-line block ×5, first 2 shown]
	v_mul_f64 v[26:27], v[14:15], s[16:17]
	v_mul_f64 v[28:29], v[14:15], s[8:9]
	;; [unrolled: 1-line block ×5, first 2 shown]
	v_fma_f64 v[140:141], v[34:35], s[22:23], v[26:27]
	v_fma_f64 v[36:37], v[34:35], s[28:29], v[28:29]
	;; [unrolled: 1-line block ×10, first 2 shown]
	v_add_f64 v[16:17], v[102:103], v[140:141]
	v_add_f64 v[34:35], v[102:103], v[36:37]
	;; [unrolled: 1-line block ×12, first 2 shown]
	v_add_f64 v[26:27], v[108:109], -v[120:121]
	v_add_f64 v[36:37], v[100:101], v[10:11]
	v_add_f64 v[96:97], v[100:101], v[12:13]
	;; [unrolled: 1-line block ×3, first 2 shown]
	v_fma_f64 v[10:11], v[159:160], s[10:11], -v[161:162]
	v_mul_f64 v[149:150], v[26:27], s[38:39]
	v_mul_f64 v[193:194], v[26:27], s[18:19]
	;; [unrolled: 1-line block ×3, first 2 shown]
	s_delay_alu instid0(VALU_DEP_3) | instskip(NEXT) | instid1(VALU_DEP_1)
	v_fma_f64 v[4:5], v[146:147], s[8:9], -v[149:150]
	v_add_f64 v[4:5], v[4:5], v[6:7]
	v_fma_f64 v[6:7], v[153:154], s[38:39], v[155:156]
	s_delay_alu instid0(VALU_DEP_2) | instskip(NEXT) | instid1(VALU_DEP_2)
	v_add_f64 v[4:5], v[10:11], v[4:5]
	v_add_f64 v[6:7], v[6:7], v[16:17]
	v_fma_f64 v[10:11], v[165:166], s[36:37], v[167:168]
	v_fma_f64 v[16:17], v[159:160], s[8:9], v[213:214]
	s_delay_alu instid0(VALU_DEP_2) | instskip(SKIP_1) | instid1(VALU_DEP_1)
	v_add_f64 v[6:7], v[10:11], v[6:7]
	v_fma_f64 v[10:11], v[171:172], s[2:3], -v[173:174]
	v_add_f64 v[4:5], v[10:11], v[4:5]
	v_fma_f64 v[10:11], v[177:178], s[18:19], v[179:180]
	s_delay_alu instid0(VALU_DEP_1) | instskip(SKIP_1) | instid1(VALU_DEP_1)
	v_add_f64 v[6:7], v[10:11], v[6:7]
	v_fma_f64 v[10:11], v[183:184], s[0:1], -v[185:186]
	v_add_f64 v[12:13], v[10:11], v[4:5]
	v_fma_f64 v[4:5], v[189:190], s[34:35], v[191:192]
	v_fma_f64 v[10:11], v[159:160], s[0:1], v[197:198]
	s_delay_alu instid0(VALU_DEP_2) | instskip(SKIP_2) | instid1(VALU_DEP_2)
	v_add_f64 v[14:15], v[4:5], v[6:7]
	v_fma_f64 v[4:5], v[146:147], s[2:3], v[193:194]
	v_fma_f64 v[6:7], v[153:154], s[24:25], v[195:196]
	v_add_f64 v[4:5], v[4:5], v[18:19]
	s_delay_alu instid0(VALU_DEP_2)
	v_add_f64 v[6:7], v[6:7], v[34:35]
	v_mul_f64 v[34:35], v[26:27], s[26:27]
	v_fma_f64 v[18:19], v[153:154], s[36:37], v[225:226]
	v_mul_f64 v[26:27], v[26:27], s[30:31]
	v_add_f64 v[4:5], v[10:11], v[4:5]
	v_fma_f64 v[10:11], v[165:166], s[34:35], v[199:200]
	s_delay_alu instid0(VALU_DEP_4) | instskip(SKIP_1) | instid1(VALU_DEP_3)
	v_add_f64 v[18:19], v[18:19], v[38:39]
	v_mul_f64 v[38:39], v[157:158], s[22:23]
	v_add_f64 v[6:7], v[10:11], v[6:7]
	v_fma_f64 v[10:11], v[171:172], s[10:11], v[201:202]
	s_delay_alu instid0(VALU_DEP_1) | instskip(SKIP_1) | instid1(VALU_DEP_1)
	v_add_f64 v[4:5], v[10:11], v[4:5]
	v_fma_f64 v[10:11], v[177:178], s[36:37], v[203:204]
	v_add_f64 v[6:7], v[10:11], v[6:7]
	v_fma_f64 v[10:11], v[183:184], s[16:17], v[205:206]
	s_delay_alu instid0(VALU_DEP_1) | instskip(SKIP_1) | instid1(VALU_DEP_1)
	v_add_f64 v[4:5], v[10:11], v[4:5]
	v_fma_f64 v[10:11], v[189:190], s[22:23], v[207:208]
	v_add_f64 v[6:7], v[10:11], v[6:7]
	v_fma_f64 v[10:11], v[146:147], s[0:1], v[209:210]
	s_delay_alu instid0(VALU_DEP_1) | instskip(SKIP_1) | instid1(VALU_DEP_2)
	v_add_f64 v[8:9], v[10:11], v[8:9]
	v_fma_f64 v[10:11], v[153:154], s[34:35], v[211:212]
	v_add_f64 v[8:9], v[16:17], v[8:9]
	s_delay_alu instid0(VALU_DEP_2) | instskip(SKIP_3) | instid1(VALU_DEP_3)
	v_add_f64 v[10:11], v[10:11], v[20:21]
	v_fma_f64 v[16:17], v[165:166], s[38:39], v[215:216]
	v_fma_f64 v[20:21], v[159:160], s[16:17], v[38:39]
	v_fma_f64 v[38:39], v[159:160], s[16:17], -v[38:39]
	v_add_f64 v[10:11], v[16:17], v[10:11]
	v_fma_f64 v[16:17], v[171:172], s[16:17], v[217:218]
	s_delay_alu instid0(VALU_DEP_1) | instskip(SKIP_1) | instid1(VALU_DEP_1)
	v_add_f64 v[8:9], v[16:17], v[8:9]
	v_fma_f64 v[16:17], v[177:178], s[30:31], v[219:220]
	v_add_f64 v[10:11], v[16:17], v[10:11]
	v_fma_f64 v[16:17], v[183:184], s[2:3], v[221:222]
	s_delay_alu instid0(VALU_DEP_1) | instskip(SKIP_1) | instid1(VALU_DEP_1)
	v_add_f64 v[8:9], v[16:17], v[8:9]
	v_fma_f64 v[16:17], v[189:190], s[24:25], v[223:224]
	v_add_f64 v[10:11], v[16:17], v[10:11]
	v_fma_f64 v[16:17], v[146:147], s[10:11], v[34:35]
	v_fma_f64 v[34:35], v[146:147], s[10:11], -v[34:35]
	s_delay_alu instid0(VALU_DEP_2) | instskip(NEXT) | instid1(VALU_DEP_2)
	v_add_f64 v[16:17], v[16:17], v[22:23]
	v_add_f64 v[34:35], v[34:35], v[96:97]
	v_fma_f64 v[96:97], v[153:154], s[26:27], v[225:226]
	s_delay_alu instid0(VALU_DEP_3) | instskip(SKIP_1) | instid1(VALU_DEP_3)
	v_add_f64 v[16:17], v[20:21], v[16:17]
	v_fma_f64 v[20:21], v[165:166], s[30:31], v[227:228]
	v_add_f64 v[32:33], v[96:97], v[32:33]
	v_add_f64 v[34:35], v[38:39], v[34:35]
	v_fma_f64 v[38:39], v[165:166], s[22:23], v[227:228]
	v_fma_f64 v[96:97], v[189:190], s[28:29], v[235:236]
	v_add_f64 v[18:19], v[20:21], v[18:19]
	v_fma_f64 v[20:21], v[171:172], s[0:1], v[229:230]
	s_delay_alu instid0(VALU_DEP_4) | instskip(SKIP_1) | instid1(VALU_DEP_3)
	v_add_f64 v[32:33], v[38:39], v[32:33]
	v_fma_f64 v[38:39], v[171:172], s[0:1], -v[229:230]
	v_add_f64 v[16:17], v[20:21], v[16:17]
	v_fma_f64 v[20:21], v[177:178], s[20:21], v[231:232]
	s_delay_alu instid0(VALU_DEP_3) | instskip(SKIP_1) | instid1(VALU_DEP_3)
	v_add_f64 v[34:35], v[38:39], v[34:35]
	v_fma_f64 v[38:39], v[177:178], s[34:35], v[231:232]
	v_add_f64 v[18:19], v[20:21], v[18:19]
	v_fma_f64 v[20:21], v[183:184], s[8:9], v[233:234]
	s_delay_alu instid0(VALU_DEP_3) | instskip(SKIP_1) | instid1(VALU_DEP_3)
	v_add_f64 v[38:39], v[38:39], v[32:33]
	v_fma_f64 v[32:33], v[183:184], s[8:9], -v[233:234]
	v_add_f64 v[16:17], v[20:21], v[16:17]
	v_fma_f64 v[20:21], v[189:190], s[38:39], v[235:236]
	s_delay_alu instid0(VALU_DEP_3)
	v_add_f64 v[32:33], v[32:33], v[34:35]
	v_add_f64 v[34:35], v[96:97], v[38:39]
	v_fma_f64 v[38:39], v[146:147], s[0:1], -v[209:210]
	v_fma_f64 v[96:97], v[189:190], s[18:19], v[223:224]
	v_add_f64 v[18:19], v[20:21], v[18:19]
	v_fma_f64 v[20:21], v[146:147], s[16:17], v[26:27]
	v_fma_f64 v[26:27], v[146:147], s[16:17], -v[26:27]
	v_add_f64 v[36:37], v[38:39], v[36:37]
	v_fma_f64 v[38:39], v[153:154], s[20:21], v[211:212]
	s_delay_alu instid0(VALU_DEP_4) | instskip(SKIP_2) | instid1(VALU_DEP_4)
	v_add_f64 v[20:21], v[20:21], v[24:25]
	v_mul_f64 v[24:25], v[151:152], s[16:17]
	v_add_f64 v[26:27], v[26:27], v[100:101]
	v_add_f64 v[30:31], v[38:39], v[30:31]
	v_fma_f64 v[38:39], v[159:160], s[8:9], -v[213:214]
	s_delay_alu instid0(VALU_DEP_4) | instskip(SKIP_1) | instid1(VALU_DEP_3)
	v_fma_f64 v[22:23], v[153:154], s[22:23], v[24:25]
	v_fma_f64 v[24:25], v[153:154], s[30:31], v[24:25]
	v_add_f64 v[36:37], v[38:39], v[36:37]
	v_fma_f64 v[38:39], v[165:166], s[28:29], v[215:216]
	s_delay_alu instid0(VALU_DEP_4) | instskip(SKIP_2) | instid1(VALU_DEP_4)
	v_add_f64 v[22:23], v[22:23], v[98:99]
	v_mul_f64 v[98:99], v[157:158], s[18:19]
	v_add_f64 v[24:25], v[24:25], v[144:145]
	v_add_f64 v[30:31], v[38:39], v[30:31]
	v_fma_f64 v[38:39], v[171:172], s[16:17], -v[217:218]
	s_delay_alu instid0(VALU_DEP_4) | instskip(SKIP_1) | instid1(VALU_DEP_3)
	v_fma_f64 v[151:152], v[159:160], s[2:3], v[98:99]
	v_fma_f64 v[98:99], v[159:160], s[2:3], -v[98:99]
	v_add_f64 v[36:37], v[38:39], v[36:37]
	v_fma_f64 v[38:39], v[177:178], s[22:23], v[219:220]
	s_delay_alu instid0(VALU_DEP_4) | instskip(SKIP_2) | instid1(VALU_DEP_4)
	v_add_f64 v[20:21], v[151:152], v[20:21]
	v_mul_f64 v[151:152], v[163:164], s[2:3]
	v_add_f64 v[26:27], v[98:99], v[26:27]
	v_add_f64 v[30:31], v[38:39], v[30:31]
	v_fma_f64 v[38:39], v[183:184], s[2:3], -v[221:222]
	s_delay_alu instid0(VALU_DEP_4) | instskip(SKIP_1) | instid1(VALU_DEP_3)
	v_fma_f64 v[157:158], v[165:166], s[24:25], v[151:152]
	v_fma_f64 v[98:99], v[165:166], s[18:19], v[151:152]
	v_add_f64 v[36:37], v[38:39], v[36:37]
	v_add_f64 v[38:39], v[96:97], v[30:31]
	v_fma_f64 v[30:31], v[146:147], s[2:3], -v[193:194]
	v_fma_f64 v[96:97], v[153:154], s[18:19], v[195:196]
	v_add_f64 v[22:23], v[157:158], v[22:23]
	v_mul_f64 v[157:158], v[169:170], s[28:29]
	v_add_f64 v[24:25], v[98:99], v[24:25]
	v_add_f64 v[30:31], v[30:31], v[140:141]
	;; [unrolled: 1-line block ×3, first 2 shown]
	v_fma_f64 v[96:97], v[159:160], s[0:1], -v[197:198]
	v_fma_f64 v[140:141], v[165:166], s[26:27], v[167:168]
	v_fma_f64 v[163:164], v[171:172], s[8:9], v[157:158]
	v_fma_f64 v[98:99], v[171:172], s[8:9], -v[157:158]
	s_delay_alu instid0(VALU_DEP_4) | instskip(SKIP_1) | instid1(VALU_DEP_4)
	v_add_f64 v[30:31], v[96:97], v[30:31]
	v_fma_f64 v[96:97], v[165:166], s[20:21], v[199:200]
	v_add_f64 v[20:21], v[163:164], v[20:21]
	v_mul_f64 v[163:164], v[175:176], s[8:9]
	v_mul_f64 v[175:176], v[187:188], s[10:11]
	v_add_f64 v[26:27], v[98:99], v[26:27]
	v_add_f64 v[28:29], v[96:97], v[28:29]
	v_fma_f64 v[96:97], v[171:172], s[10:11], -v[201:202]
	v_fma_f64 v[169:170], v[177:178], s[38:39], v[163:164]
	v_fma_f64 v[98:99], v[177:178], s[28:29], v[163:164]
	v_fma_f64 v[100:101], v[189:190], s[36:37], v[175:176]
	s_delay_alu instid0(VALU_DEP_4) | instskip(SKIP_4) | instid1(VALU_DEP_4)
	v_add_f64 v[30:31], v[96:97], v[30:31]
	v_fma_f64 v[96:97], v[177:178], s[26:27], v[203:204]
	v_add_f64 v[22:23], v[169:170], v[22:23]
	v_mul_f64 v[169:170], v[181:182], s[36:37]
	v_add_f64 v[98:99], v[98:99], v[24:25]
	v_add_f64 v[28:29], v[96:97], v[28:29]
	v_fma_f64 v[96:97], v[183:184], s[16:17], -v[205:206]
	s_delay_alu instid0(VALU_DEP_4) | instskip(SKIP_1) | instid1(VALU_DEP_3)
	v_fma_f64 v[24:25], v[183:184], s[10:11], -v[169:170]
	v_fma_f64 v[181:182], v[183:184], s[10:11], v[169:170]
	v_add_f64 v[96:97], v[96:97], v[30:31]
	v_fma_f64 v[30:31], v[153:154], s[28:29], v[155:156]
	s_delay_alu instid0(VALU_DEP_4)
	v_add_f64 v[24:25], v[24:25], v[26:27]
	v_add_f64 v[26:27], v[100:101], v[98:99]
	v_fma_f64 v[98:99], v[189:190], s[30:31], v[207:208]
	v_fma_f64 v[100:101], v[159:160], s[10:11], v[161:162]
	v_add_f64 v[20:21], v[181:182], v[20:21]
	v_fma_f64 v[181:182], v[189:190], s[26:27], v[175:176]
	v_add_f64 v[30:31], v[30:31], v[102:103]
	;; [unrolled: 2-line block ×4, first 2 shown]
	v_add_f64 v[30:31], v[140:141], v[30:31]
	v_fma_f64 v[140:141], v[189:190], s[20:21], v[191:192]
	s_delay_alu instid0(VALU_DEP_4) | instskip(SKIP_1) | instid1(VALU_DEP_2)
	v_add_f64 v[28:29], v[28:29], v[142:143]
	v_fma_f64 v[142:143], v[177:178], s[24:25], v[179:180]
	v_add_f64 v[28:29], v[100:101], v[28:29]
	v_fma_f64 v[100:101], v[183:184], s[0:1], v[185:186]
	s_delay_alu instid0(VALU_DEP_3) | instskip(NEXT) | instid1(VALU_DEP_3)
	v_add_f64 v[30:31], v[142:143], v[30:31]
	v_add_f64 v[28:29], v[102:103], v[28:29]
	;; [unrolled: 1-line block ×3, first 2 shown]
	s_delay_alu instid0(VALU_DEP_3) | instskip(NEXT) | instid1(VALU_DEP_3)
	v_add_f64 v[30:31], v[140:141], v[30:31]
	v_add_f64 v[28:29], v[100:101], v[28:29]
	;; [unrolled: 1-line block ×3, first 2 shown]
	s_delay_alu instid0(VALU_DEP_4) | instskip(NEXT) | instid1(VALU_DEP_2)
	v_add_f64 v[102:103], v[102:103], v[116:117]
	v_add_f64 v[100:101], v[100:101], v[118:119]
	s_delay_alu instid0(VALU_DEP_2) | instskip(NEXT) | instid1(VALU_DEP_2)
	v_add_f64 v[102:103], v[102:103], v[130:131]
	v_add_f64 v[100:101], v[100:101], v[128:129]
	s_delay_alu instid0(VALU_DEP_1) | instskip(NEXT) | instid1(VALU_DEP_3)
	v_add_f64 v[2:3], v[100:101], v[2:3]
	v_add_f64 v[100:101], v[102:103], v[134:135]
	s_delay_alu instid0(VALU_DEP_2) | instskip(NEXT) | instid1(VALU_DEP_2)
	v_add_f64 v[2:3], v[2:3], v[136:137]
	v_add_f64 v[100:101], v[100:101], v[138:139]
	s_delay_alu instid0(VALU_DEP_2) | instskip(NEXT) | instid1(VALU_DEP_2)
	;; [unrolled: 3-line block ×5, first 2 shown]
	v_add_f64 v[0:1], v[2:3], v[114:115]
	v_add_f64 v[2:3], v[100:101], v[112:113]
	ds_store_b128 v248, v[4:7] offset:416
	ds_store_b128 v248, v[8:11] offset:624
	;; [unrolled: 1-line block ×10, first 2 shown]
	ds_store_b128 v248, v[0:3]
	s_waitcnt lgkmcnt(0)
	s_barrier
	buffer_gl0_inv
	s_and_saveexec_b32 s0, vcc_lo
	s_cbranch_execz .LBB0_19
; %bb.18:
	ds_load_b128 v[0:3], v245
	ds_load_b128 v[28:31], v245 offset:2288
	ds_load_b128 v[4:7], v245 offset:4576
	;; [unrolled: 1-line block ×12, first 2 shown]
.LBB0_19:
	s_or_b32 exec_lo, exec_lo, s0
	s_and_saveexec_b32 s33, vcc_lo
	s_cbranch_execz .LBB0_21
; %bb.20:
	scratch_load_b128 v[40:43], off, off    ; 16-byte Folded Reload
	s_waitcnt lgkmcnt(6)
	v_mul_f64 v[100:101], v[78:79], v[26:27]
	v_mul_f64 v[104:105], v[74:75], v[22:23]
	s_waitcnt lgkmcnt(4)
	v_mul_f64 v[106:107], v[82:83], v[38:39]
	v_mul_f64 v[74:75], v[74:75], v[20:21]
	s_waitcnt lgkmcnt(0)
	v_mul_f64 v[110:111], v[50:51], v[90:91]
	v_mul_f64 v[114:115], v[50:51], v[88:89]
	v_mul_f64 v[78:79], v[78:79], v[24:25]
	v_mul_f64 v[116:117], v[62:63], v[18:19]
	v_mul_f64 v[118:119], v[70:71], v[98:99]
	v_mul_f64 v[120:121], v[58:59], v[10:11]
	v_mul_f64 v[122:123], v[66:67], v[14:15]
	v_mul_f64 v[124:125], v[46:47], v[6:7]
	v_mul_f64 v[126:127], v[54:55], v[94:95]
	v_mul_f64 v[82:83], v[82:83], v[36:37]
	v_mul_f64 v[62:63], v[62:63], v[16:17]
	v_mul_f64 v[70:71], v[70:71], v[96:97]
	v_mul_f64 v[128:129], v[58:59], v[8:9]
	v_mul_f64 v[66:67], v[66:67], v[12:13]
	v_mul_f64 v[130:131], v[46:47], v[4:5]
	v_mul_f64 v[132:133], v[54:55], v[92:93]
	v_mul_f64 v[102:103], v[86:87], v[34:35]
	v_mul_f64 v[86:87], v[86:87], v[32:33]
	s_mov_b32 s18, 0x4bc48dbf
	s_mov_b32 s19, 0xbfcea1e5
	;; [unrolled: 1-line block ×17, first 2 shown]
	v_fma_f64 v[50:51], v[72:73], v[20:21], v[104:105]
	s_mov_b32 s17, 0x3fbedb7d
	s_mov_b32 s31, 0xbfedeba7
	v_fma_f64 v[20:21], v[48:49], v[88:89], v[110:111]
	s_mov_b32 s25, 0x3fea55e2
	v_fma_f64 v[46:47], v[76:77], v[26:27], -v[78:79]
	s_mov_b32 s37, 0x3fcea1e5
	s_mov_b32 s35, 0xbfea55e2
	;; [unrolled: 1-line block ×4, first 2 shown]
	v_fma_f64 v[58:59], v[44:45], v[4:5], v[124:125]
	v_fma_f64 v[4:5], v[52:53], v[92:93], v[126:127]
	v_fma_f64 v[26:27], v[80:81], v[38:39], -v[82:83]
	v_fma_f64 v[38:39], v[60:61], v[18:19], -v[62:63]
	;; [unrolled: 1-line block ×5, first 2 shown]
	s_mov_b32 s34, s24
	s_mov_b32 s38, s26
	v_fma_f64 v[32:33], v[84:85], v[32:33], v[102:103]
	v_fma_f64 v[34:35], v[84:85], v[34:35], -v[86:87]
	s_mov_b32 s10, 0xb2365da1
	s_mov_b32 s8, 0x1ea71119
	;; [unrolled: 1-line block ×8, first 2 shown]
	v_add_f64 v[98:99], v[58:59], v[4:5]
	v_add_f64 v[70:71], v[38:39], -v[18:19]
	v_add_f64 v[84:85], v[38:39], v[18:19]
	v_add_f64 v[86:87], v[54:55], v[10:11]
	v_add_f64 v[14:15], v[46:47], -v[34:35]
	s_delay_alu instid0(VALU_DEP_4)
	v_mul_f64 v[138:139], v[70:71], s[36:37]
	v_mul_f64 v[183:184], v[70:71], s[28:29]
	;; [unrolled: 1-line block ×6, first 2 shown]
	s_waitcnt vmcnt(0)
	v_mul_f64 v[108:109], v[42:43], v[30:31]
	v_mul_f64 v[112:113], v[42:43], v[28:29]
	v_fma_f64 v[42:43], v[76:77], v[24:25], v[100:101]
	v_fma_f64 v[24:25], v[80:81], v[36:37], v[106:107]
	v_fma_f64 v[36:37], v[72:73], v[22:23], -v[74:75]
	v_fma_f64 v[22:23], v[48:49], v[90:91], -v[114:115]
	v_fma_f64 v[48:49], v[56:57], v[8:9], v[120:121]
	v_fma_f64 v[56:57], v[44:45], v[6:7], -v[130:131]
	v_fma_f64 v[6:7], v[52:53], v[94:95], -v[132:133]
	v_fma_f64 v[8:9], v[64:65], v[12:13], v[122:123]
	v_add_f64 v[64:65], v[58:59], -v[4:5]
	v_add_f64 v[76:77], v[54:55], -v[10:11]
	v_add_f64 v[80:81], v[46:47], v[34:35]
	v_fma_f64 v[72:73], v[40:41], v[28:29], v[108:109]
	v_fma_f64 v[74:75], v[40:41], v[30:31], -v[112:113]
	v_fma_f64 v[40:41], v[60:61], v[16:17], v[116:117]
	v_fma_f64 v[16:17], v[68:69], v[96:97], v[118:119]
	v_add_f64 v[30:31], v[36:37], -v[26:27]
	v_add_f64 v[12:13], v[42:43], -v[32:33]
	v_add_f64 v[28:29], v[50:51], -v[24:25]
	v_add_f64 v[92:93], v[50:51], v[24:25]
	v_add_f64 v[78:79], v[56:57], -v[6:7]
	v_add_f64 v[88:89], v[56:57], v[6:7]
	v_add_f64 v[62:63], v[48:49], -v[8:9]
	v_add_f64 v[96:97], v[48:49], v[8:9]
	v_mul_f64 v[116:117], v[64:65], s[28:29]
	v_mul_f64 v[132:133], v[64:65], s[26:27]
	;; [unrolled: 1-line block ×4, first 2 shown]
	v_add_f64 v[82:83], v[36:37], v[26:27]
	v_mul_f64 v[153:154], v[64:65], s[40:41]
	v_mul_f64 v[179:180], v[64:65], s[18:19]
	;; [unrolled: 1-line block ×3, first 2 shown]
	v_add_f64 v[90:91], v[42:43], v[32:33]
	v_mul_f64 v[64:65], v[64:65], s[34:35]
	v_mul_f64 v[185:186], v[76:77], s[42:43]
	;; [unrolled: 1-line block ×4, first 2 shown]
	v_add_f64 v[68:69], v[0:1], v[72:73]
	v_add_f64 v[66:67], v[2:3], v[74:75]
	v_add_f64 v[44:45], v[72:73], -v[20:21]
	v_add_f64 v[52:53], v[74:75], -v[22:23]
	v_add_f64 v[74:75], v[74:75], v[22:23]
	v_add_f64 v[72:73], v[72:73], v[20:21]
	v_add_f64 v[60:61], v[40:41], -v[16:17]
	v_add_f64 v[94:95], v[40:41], v[16:17]
	v_mul_f64 v[122:123], v[78:79], s[28:29]
	v_mul_f64 v[142:143], v[78:79], s[26:27]
	;; [unrolled: 1-line block ×4, first 2 shown]
	v_fma_f64 v[207:208], v[88:89], s[0:1], v[116:117]
	v_fma_f64 v[116:117], v[88:89], s[0:1], -v[116:117]
	v_mul_f64 v[136:137], v[30:31], s[28:29]
	v_fma_f64 v[211:212], v[88:89], s[16:17], v[132:133]
	v_mul_f64 v[126:127], v[28:29], s[28:29]
	v_mul_f64 v[151:152], v[62:63], s[28:29]
	;; [unrolled: 1-line block ×3, first 2 shown]
	v_fma_f64 v[132:133], v[88:89], s[16:17], -v[132:133]
	v_mul_f64 v[163:164], v[78:79], s[40:41]
	v_mul_f64 v[203:204], v[78:79], s[30:31]
	v_fma_f64 v[237:238], v[96:97], s[8:9], -v[140:141]
	v_mul_f64 v[106:107], v[28:29], s[30:31]
	v_mul_f64 v[120:121], v[30:31], s[30:31]
	;; [unrolled: 1-line block ×4, first 2 shown]
	v_fma_f64 v[241:242], v[96:97], s[0:1], -v[161:162]
	v_mul_f64 v[62:63], v[62:63], s[38:39]
	v_mul_f64 v[146:147], v[28:29], s[36:37]
	;; [unrolled: 1-line block ×6, first 2 shown]
	v_fma_f64 v[219:220], v[90:91], s[16:17], -v[118:119]
	v_fma_f64 v[118:119], v[90:91], s[16:17], v[118:119]
	v_fma_f64 v[235:236], v[90:91], s[10:11], -v[134:135]
	v_add_f64 v[58:59], v[68:69], v[58:59]
	v_add_f64 v[56:57], v[66:67], v[56:57]
	v_mul_f64 v[102:103], v[44:45], s[18:19]
	v_mul_f64 v[104:105], v[52:53], s[18:19]
	;; [unrolled: 1-line block ×10, first 2 shown]
	v_fma_f64 v[209:210], v[98:99], s[0:1], -v[122:123]
	v_fma_f64 v[122:123], v[98:99], s[0:1], v[122:123]
	v_fma_f64 v[213:214], v[98:99], s[16:17], -v[142:143]
	v_mul_f64 v[167:168], v[60:61], s[28:29]
	s_mov_b32 s29, 0xbfddbe06
	v_mul_f64 v[108:109], v[60:61], s[24:25]
	v_mul_f64 v[44:45], v[44:45], s[28:29]
	v_fma_f64 v[217:218], v[86:87], s[2:3], v[114:115]
	v_fma_f64 v[114:115], v[86:87], s[2:3], -v[114:115]
	v_mul_f64 v[66:67], v[70:71], s[24:25]
	v_fma_f64 v[233:234], v[86:87], s[8:9], v[130:131]
	v_fma_f64 v[142:143], v[98:99], s[16:17], v[142:143]
	v_mul_f64 v[128:129], v[60:61], s[36:37]
	v_fma_f64 v[246:247], v[98:99], s[2:3], -v[163:164]
	v_mul_f64 v[76:77], v[76:77], s[38:39]
	v_mul_f64 v[149:150], v[60:61], s[38:39]
	;; [unrolled: 1-line block ×3, first 2 shown]
	v_fma_f64 v[221:222], v[92:93], s[10:11], -v[120:121]
	v_fma_f64 v[120:121], v[92:93], s[10:11], v[120:121]
	v_mul_f64 v[60:61], v[60:61], s[30:31]
	v_mul_f64 v[70:71], v[70:71], s[30:31]
	v_fma_f64 v[229:230], v[82:83], s[0:1], v[126:127]
	v_fma_f64 v[126:127], v[82:83], s[0:1], -v[126:127]
	v_fma_f64 v[215:216], v[80:81], s[16:17], v[100:101]
	v_fma_f64 v[100:101], v[80:81], s[16:17], -v[100:101]
	v_fma_f64 v[227:228], v[80:81], s[10:11], v[124:125]
	v_add_f64 v[48:49], v[58:59], v[48:49]
	v_add_f64 v[54:55], v[56:57], v[54:55]
	v_fma_f64 v[171:172], v[74:75], s[20:21], v[102:103]
	v_fma_f64 v[102:103], v[74:75], s[20:21], -v[102:103]
	v_fma_f64 v[173:174], v[72:73], s[20:21], -v[104:105]
	v_fma_f64 v[104:105], v[72:73], s[20:21], v[104:105]
	v_fma_f64 v[175:176], v[74:75], s[2:3], v[110:111]
	v_fma_f64 v[177:178], v[72:73], s[2:3], -v[112:113]
	v_fma_f64 v[110:111], v[74:75], s[2:3], -v[110:111]
	v_mul_f64 v[58:59], v[52:53], s[38:39]
	v_fma_f64 v[112:113], v[72:73], s[2:3], v[112:113]
	v_mul_f64 v[52:53], v[52:53], s[28:29]
	v_mul_f64 v[56:57], v[78:79], s[18:19]
	v_fma_f64 v[225:226], v[96:97], s[2:3], -v[68:69]
	v_fma_f64 v[68:69], v[96:97], s[2:3], v[68:69]
	v_fma_f64 v[248:249], v[74:75], s[8:9], v[195:196]
	v_fma_f64 v[250:251], v[72:73], s[8:9], -v[205:206]
	v_fma_f64 v[195:196], v[74:75], s[8:9], -v[195:196]
	v_fma_f64 v[205:206], v[72:73], s[8:9], v[205:206]
	v_fma_f64 v[239:240], v[74:75], s[10:11], v[155:156]
	v_mul_f64 v[78:79], v[78:79], s[34:35]
	v_fma_f64 v[223:224], v[94:95], s[8:9], -v[66:67]
	v_fma_f64 v[66:67], v[94:95], s[8:9], v[66:67]
	v_fma_f64 v[231:232], v[84:85], s[20:21], v[128:129]
	v_fma_f64 v[128:129], v[84:85], s[20:21], -v[128:129]
	v_add_f64 v[40:41], v[48:49], v[40:41]
	v_add_f64 v[38:39], v[54:55], v[38:39]
	v_add_f64 v[171:172], v[2:3], v[171:172]
	v_add_f64 v[102:103], v[2:3], v[102:103]
	v_add_f64 v[173:174], v[0:1], v[173:174]
	v_add_f64 v[104:105], v[0:1], v[104:105]
	v_add_f64 v[175:176], v[2:3], v[175:176]
	v_add_f64 v[177:178], v[0:1], v[177:178]
	v_add_f64 v[110:111], v[2:3], v[110:111]
	v_fma_f64 v[243:244], v[72:73], s[16:17], -v[58:59]
	v_add_f64 v[112:113], v[0:1], v[112:113]
	v_fma_f64 v[58:59], v[72:73], s[16:17], v[58:59]
	v_fma_f64 v[54:55], v[84:85], s[8:9], v[108:109]
	v_fma_f64 v[108:109], v[84:85], s[8:9], -v[108:109]
	v_fma_f64 v[48:49], v[82:83], s[10:11], v[106:107]
	v_fma_f64 v[106:107], v[82:83], s[10:11], -v[106:107]
	v_add_f64 v[195:196], v[2:3], v[195:196]
	v_add_f64 v[205:206], v[0:1], v[205:206]
	v_add_f64 v[239:240], v[2:3], v[239:240]
	v_add_f64 v[36:37], v[38:39], v[36:37]
	v_add_f64 v[38:39], v[40:41], v[50:51]
	v_add_f64 v[102:103], v[116:117], v[102:103]
	v_add_f64 v[171:172], v[207:208], v[171:172]
	v_add_f64 v[173:174], v[209:210], v[173:174]
	v_add_f64 v[104:105], v[122:123], v[104:105]
	v_add_f64 v[116:117], v[211:212], v[175:176]
	v_add_f64 v[122:123], v[213:214], v[177:178]
	v_fma_f64 v[175:176], v[92:93], s[0:1], -v[136:137]
	v_fma_f64 v[177:178], v[94:95], s[20:21], -v[138:139]
	;; [unrolled: 1-line block ×3, first 2 shown]
	v_fma_f64 v[50:51], v[92:93], s[0:1], v[136:137]
	v_fma_f64 v[130:131], v[94:95], s[20:21], v[138:139]
	v_fma_f64 v[136:137], v[72:73], s[10:11], -v[165:166]
	v_fma_f64 v[138:139], v[96:97], s[8:9], v[140:141]
	v_fma_f64 v[140:141], v[74:75], s[10:11], -v[155:156]
	v_fma_f64 v[165:166], v[72:73], s[10:11], v[165:166]
	v_fma_f64 v[211:212], v[74:75], s[16:17], v[181:182]
	v_fma_f64 v[181:182], v[74:75], s[16:17], -v[181:182]
	v_add_f64 v[110:111], v[132:133], v[110:111]
	v_fma_f64 v[132:133], v[74:75], s[0:1], v[44:45]
	v_fma_f64 v[44:45], v[74:75], s[0:1], -v[44:45]
	v_fma_f64 v[213:214], v[88:89], s[2:3], v[153:154]
	v_add_f64 v[112:113], v[142:143], v[112:113]
	v_fma_f64 v[74:75], v[98:99], s[2:3], v[163:164]
	v_fma_f64 v[163:164], v[88:89], s[10:11], v[193:194]
	v_add_f64 v[58:59], v[0:1], v[58:59]
	v_fma_f64 v[209:210], v[86:87], s[0:1], v[151:152]
	v_fma_f64 v[151:152], v[86:87], s[0:1], -v[151:152]
	v_fma_f64 v[207:208], v[84:85], s[16:17], v[149:150]
	v_fma_f64 v[155:156], v[82:83], s[20:21], v[146:147]
	v_add_f64 v[36:37], v[36:37], v[46:47]
	v_add_f64 v[38:39], v[38:39], v[42:43]
	v_fma_f64 v[42:43], v[72:73], s[0:1], v[52:53]
	v_add_f64 v[102:103], v[114:115], v[102:103]
	v_fma_f64 v[46:47], v[72:73], s[0:1], -v[52:53]
	v_add_f64 v[142:143], v[217:218], v[171:172]
	v_add_f64 v[171:172], v[225:226], v[173:174]
	;; [unrolled: 1-line block ×5, first 2 shown]
	v_fma_f64 v[116:117], v[88:89], s[2:3], -v[153:154]
	v_fma_f64 v[122:123], v[96:97], s[0:1], v[161:162]
	v_fma_f64 v[52:53], v[88:89], s[20:21], v[179:180]
	v_add_f64 v[72:73], v[0:1], v[136:137]
	v_fma_f64 v[136:137], v[98:99], s[20:21], -v[56:57]
	v_add_f64 v[140:141], v[2:3], v[140:141]
	v_fma_f64 v[153:154], v[88:89], s[20:21], -v[179:180]
	v_add_f64 v[161:162], v[0:1], v[165:166]
	v_fma_f64 v[56:57], v[98:99], s[20:21], v[56:57]
	v_add_f64 v[165:166], v[2:3], v[211:212]
	v_fma_f64 v[173:174], v[98:99], s[10:11], -v[203:204]
	v_fma_f64 v[179:180], v[88:89], s[10:11], -v[193:194]
	v_add_f64 v[193:194], v[0:1], v[243:244]
	v_fma_f64 v[203:204], v[98:99], s[10:11], v[203:204]
	v_add_f64 v[181:182], v[2:3], v[181:182]
	v_add_f64 v[217:218], v[2:3], v[248:249]
	;; [unrolled: 1-line block ×3, first 2 shown]
	v_fma_f64 v[211:212], v[88:89], s[8:9], v[64:65]
	v_add_f64 v[132:133], v[2:3], v[132:133]
	v_fma_f64 v[64:65], v[88:89], s[8:9], -v[64:65]
	v_add_f64 v[2:3], v[2:3], v[44:45]
	v_fma_f64 v[44:45], v[98:99], s[8:9], v[78:79]
	v_add_f64 v[40:41], v[40:41], v[110:111]
	v_add_f64 v[110:111], v[138:139], v[112:113]
	v_fma_f64 v[88:89], v[96:97], s[10:11], v[185:186]
	v_fma_f64 v[138:139], v[96:97], s[20:21], v[201:202]
	v_add_f64 v[213:214], v[213:214], v[239:240]
	v_add_f64 v[34:35], v[36:37], v[34:35]
	;; [unrolled: 1-line block ×5, first 2 shown]
	v_fma_f64 v[108:109], v[98:99], s[8:9], -v[78:79]
	v_add_f64 v[0:1], v[0:1], v[46:47]
	v_add_f64 v[54:55], v[54:55], v[142:143]
	;; [unrolled: 1-line block ×3, first 2 shown]
	v_fma_f64 v[38:39], v[86:87], s[10:11], v[169:170]
	v_fma_f64 v[46:47], v[96:97], s[10:11], -v[185:186]
	v_fma_f64 v[78:79], v[86:87], s[10:11], -v[169:170]
	v_fma_f64 v[98:99], v[86:87], s[20:21], v[191:192]
	v_add_f64 v[66:67], v[66:67], v[68:69]
	v_add_f64 v[42:43], v[246:247], v[72:73]
	;; [unrolled: 1-line block ×4, first 2 shown]
	v_fma_f64 v[116:117], v[86:87], s[20:21], -v[191:192]
	v_add_f64 v[74:75], v[74:75], v[161:162]
	v_add_f64 v[56:57], v[56:57], v[58:59]
	;; [unrolled: 1-line block ×6, first 2 shown]
	v_fma_f64 v[114:115], v[96:97], s[20:21], -v[201:202]
	v_add_f64 v[140:141], v[153:154], v[181:182]
	v_add_f64 v[58:59], v[163:164], v[217:218]
	;; [unrolled: 1-line block ×4, first 2 shown]
	v_fma_f64 v[142:143], v[86:87], s[16:17], v[62:63]
	v_fma_f64 v[62:63], v[86:87], s[16:17], -v[62:63]
	v_add_f64 v[2:3], v[64:65], v[2:3]
	v_fma_f64 v[64:65], v[96:97], s[16:17], v[76:77]
	v_add_f64 v[132:133], v[211:212], v[132:133]
	v_add_f64 v[40:41], v[128:129], v[40:41]
	;; [unrolled: 1-line block ×3, first 2 shown]
	v_fma_f64 v[86:87], v[84:85], s[0:1], v[167:168]
	v_fma_f64 v[128:129], v[84:85], s[2:3], -v[189:190]
	v_fma_f64 v[130:131], v[94:95], s[2:3], v[199:200]
	v_add_f64 v[26:27], v[34:35], v[26:27]
	v_add_f64 v[24:25], v[32:33], v[24:25]
	;; [unrolled: 1-line block ×4, first 2 shown]
	v_fma_f64 v[106:107], v[96:97], s[16:17], -v[76:77]
	v_add_f64 v[0:1], v[108:109], v[0:1]
	v_add_f64 v[48:49], v[48:49], v[54:55]
	;; [unrolled: 1-line block ×3, first 2 shown]
	v_fma_f64 v[34:35], v[94:95], s[16:17], -v[159:160]
	v_mul_f64 v[76:77], v[28:29], s[34:35]
	v_fma_f64 v[96:97], v[94:95], s[0:1], -v[183:184]
	v_fma_f64 v[108:109], v[84:85], s[0:1], -v[167:168]
	v_fma_f64 v[112:113], v[94:95], s[0:1], v[183:184]
	v_add_f64 v[36:37], v[241:242], v[42:43]
	v_fma_f64 v[42:43], v[84:85], s[16:17], -v[149:150]
	v_add_f64 v[44:45], v[151:152], v[72:73]
	v_fma_f64 v[72:73], v[94:95], s[16:17], v[159:160]
	v_add_f64 v[74:75], v[122:123], v[74:75]
	v_add_f64 v[56:57], v[88:89], v[56:57]
	;; [unrolled: 1-line block ×3, first 2 shown]
	v_mul_f64 v[52:53], v[30:31], s[34:35]
	v_mul_f64 v[88:89], v[28:29], s[26:27]
	v_add_f64 v[46:47], v[46:47], v[136:137]
	v_add_f64 v[116:117], v[116:117], v[161:162]
	;; [unrolled: 1-line block ×4, first 2 shown]
	v_mul_f64 v[98:99], v[30:31], s[26:27]
	v_add_f64 v[136:137], v[138:139], v[163:164]
	v_add_f64 v[165:166], v[209:210], v[213:214]
	;; [unrolled: 1-line block ×3, first 2 shown]
	v_fma_f64 v[120:121], v[84:85], s[2:3], v[189:190]
	v_fma_f64 v[122:123], v[94:95], s[2:3], -v[199:200]
	v_add_f64 v[114:115], v[114:115], v[153:154]
	v_mul_f64 v[28:29], v[28:29], s[22:23]
	v_fma_f64 v[138:139], v[84:85], s[10:11], v[60:61]
	v_mul_f64 v[30:31], v[30:31], s[22:23]
	v_fma_f64 v[60:61], v[84:85], s[10:11], -v[60:61]
	v_add_f64 v[2:3], v[62:63], v[2:3]
	v_add_f64 v[18:19], v[26:27], v[18:19]
	;; [unrolled: 1-line block ×3, first 2 shown]
	v_fma_f64 v[62:63], v[94:95], s[10:11], v[70:71]
	v_add_f64 v[24:25], v[64:65], v[32:33]
	v_add_f64 v[132:133], v[142:143], v[132:133]
	v_fma_f64 v[140:141], v[94:95], s[10:11], -v[70:71]
	v_add_f64 v[0:1], v[106:107], v[0:1]
	v_mul_f64 v[32:33], v[14:15], s[24:25]
	v_fma_f64 v[64:65], v[92:93], s[20:21], -v[157:158]
	v_mul_f64 v[84:85], v[14:15], s[22:23]
	v_mul_f64 v[14:15], v[14:15], s[18:19]
	v_add_f64 v[50:51], v[50:51], v[110:111]
	v_add_f64 v[68:69], v[229:230], v[68:69]
	v_add_f64 v[34:35], v[34:35], v[36:37]
	v_fma_f64 v[36:37], v[82:83], s[20:21], -v[146:147]
	v_add_f64 v[42:43], v[42:43], v[44:45]
	v_fma_f64 v[44:45], v[92:93], s[20:21], v[157:158]
	v_add_f64 v[70:71], v[72:73], v[74:75]
	v_mul_f64 v[72:73], v[12:13], s[22:23]
	v_fma_f64 v[74:75], v[82:83], s[8:9], v[76:77]
	v_add_f64 v[38:39], v[86:87], v[38:39]
	v_fma_f64 v[86:87], v[92:93], s[8:9], -v[52:53]
	v_add_f64 v[46:47], v[96:97], v[46:47]
	v_fma_f64 v[76:77], v[82:83], s[8:9], -v[76:77]
	v_add_f64 v[78:79], v[108:109], v[78:79]
	v_add_f64 v[56:57], v[112:113], v[56:57]
	v_fma_f64 v[94:95], v[82:83], s[16:17], v[88:89]
	v_fma_f64 v[96:97], v[92:93], s[16:17], -v[98:99]
	v_fma_f64 v[88:89], v[82:83], s[16:17], -v[88:89]
	v_add_f64 v[108:109], v[128:129], v[116:117]
	v_fma_f64 v[98:99], v[92:93], s[16:17], v[98:99]
	v_add_f64 v[112:113], v[130:131], v[136:137]
	v_fma_f64 v[52:53], v[92:93], s[8:9], v[52:53]
	v_add_f64 v[26:27], v[207:208], v[165:166]
	v_add_f64 v[58:59], v[120:121], v[58:59]
	;; [unrolled: 1-line block ×3, first 2 shown]
	v_mul_f64 v[12:13], v[12:13], s[18:19]
	v_fma_f64 v[114:115], v[82:83], s[2:3], v[28:29]
	v_add_f64 v[10:11], v[18:19], v[10:11]
	v_add_f64 v[8:9], v[16:17], v[8:9]
	v_fma_f64 v[120:121], v[92:93], s[2:3], -v[30:31]
	v_fma_f64 v[28:29], v[82:83], s[2:3], -v[28:29]
	v_add_f64 v[2:3], v[60:61], v[2:3]
	v_fma_f64 v[30:31], v[92:93], s[2:3], v[30:31]
	v_add_f64 v[16:17], v[62:63], v[24:25]
	v_add_f64 v[116:117], v[138:139], v[132:133]
	;; [unrolled: 1-line block ×3, first 2 shown]
	v_fma_f64 v[62:63], v[90:91], s[8:9], -v[32:33]
	v_fma_f64 v[18:19], v[80:81], s[10:11], -v[124:125]
	v_add_f64 v[24:25], v[126:127], v[40:41]
	v_fma_f64 v[60:61], v[80:81], s[8:9], v[144:145]
	v_add_f64 v[34:35], v[64:65], v[34:35]
	v_fma_f64 v[64:65], v[80:81], s[8:9], -v[144:145]
	v_add_f64 v[36:37], v[36:37], v[42:43]
	v_fma_f64 v[42:43], v[90:91], s[8:9], v[32:33]
	v_add_f64 v[44:45], v[44:45], v[70:71]
	v_fma_f64 v[70:71], v[80:81], s[2:3], v[72:73]
	v_fma_f64 v[32:33], v[80:81], s[2:3], -v[72:73]
	v_add_f64 v[38:39], v[74:75], v[38:39]
	v_fma_f64 v[74:75], v[90:91], s[2:3], -v[84:85]
	v_add_f64 v[46:47], v[86:87], v[46:47]
	v_fma_f64 v[40:41], v[90:91], s[10:11], v[134:135]
	v_add_f64 v[72:73], v[76:77], v[78:79]
	v_fma_f64 v[76:77], v[90:91], s[2:3], v[84:85]
	v_fma_f64 v[78:79], v[80:81], s[0:1], -v[187:188]
	v_fma_f64 v[84:85], v[90:91], s[0:1], v[197:198]
	v_add_f64 v[104:105], v[175:176], v[104:105]
	v_add_f64 v[82:83], v[88:89], v[108:109]
	v_fma_f64 v[88:89], v[90:91], s[0:1], -v[197:198]
	v_add_f64 v[86:87], v[98:99], v[112:113]
	v_add_f64 v[52:53], v[52:53], v[56:57]
	;; [unrolled: 1-line block ×3, first 2 shown]
	v_fma_f64 v[56:57], v[80:81], s[0:1], v[187:188]
	v_add_f64 v[58:59], v[94:95], v[58:59]
	v_add_f64 v[92:93], v[96:97], v[106:107]
	v_fma_f64 v[94:95], v[80:81], s[20:21], v[12:13]
	v_add_f64 v[108:109], v[10:11], v[6:7]
	v_add_f64 v[110:111], v[8:9], v[4:5]
	v_fma_f64 v[98:99], v[90:91], s[20:21], -v[14:15]
	v_fma_f64 v[80:81], v[80:81], s[20:21], -v[12:13]
	v_add_f64 v[106:107], v[28:29], v[2:3]
	v_fma_f64 v[90:91], v[90:91], s[20:21], v[14:15]
	v_add_f64 v[112:113], v[30:31], v[16:17]
	v_add_f64 v[96:97], v[114:115], v[116:117]
	;; [unrolled: 1-line block ×29, first 2 shown]
	ds_store_b128 v245, v[32:35] offset:4576
	ds_store_b128 v245, v[28:31] offset:6864
	;; [unrolled: 1-line block ×10, first 2 shown]
	ds_store_b128 v245, v[20:23]
	ds_store_b128 v245, v[48:51] offset:2288
	ds_store_b128 v245, v[44:47] offset:27456
.LBB0_21:
	s_or_b32 exec_lo, exec_lo, s33
	s_waitcnt lgkmcnt(0)
	s_barrier
	buffer_gl0_inv
	s_and_b32 exec_lo, exec_lo, vcc_lo
	s_cbranch_execz .LBB0_23
; %bb.22:
	v_add_co_u32 v36, s0, s14, v245
	s_delay_alu instid0(VALU_DEP_1) | instskip(SKIP_1) | instid1(VALU_DEP_3)
	v_add_co_ci_u32_e64 v37, null, s15, 0, s0
	v_mad_u64_u32 v[88:89], null, s6, v148, 0
	v_add_co_u32 v12, vcc_lo, 0x1000, v36
	s_delay_alu instid0(VALU_DEP_3)
	v_add_co_ci_u32_e32 v13, vcc_lo, 0, v37, vcc_lo
	v_add_co_u32 v20, vcc_lo, 0x2000, v36
	v_add_co_ci_u32_e32 v21, vcc_lo, 0, v37, vcc_lo
	v_add_co_u32 v28, vcc_lo, 0x3000, v36
	;; [unrolled: 2-line block ×3, first 2 shown]
	v_add_co_ci_u32_e32 v33, vcc_lo, 0, v37, vcc_lo
	s_clause 0x3
	global_load_b128 v[0:3], v245, s[14:15]
	global_load_b128 v[4:7], v245, s[14:15] offset:2288
	global_load_b128 v[8:11], v[12:13], off offset:480
	global_load_b128 v[12:15], v[12:13], off offset:2768
	v_add_co_u32 v40, vcc_lo, 0x5000, v36
	v_add_co_ci_u32_e32 v41, vcc_lo, 0, v37, vcc_lo
	v_add_co_u32 v100, vcc_lo, 0x6000, v36
	s_clause 0x4
	global_load_b128 v[16:19], v[20:21], off offset:960
	global_load_b128 v[20:23], v[20:21], off offset:3248
	;; [unrolled: 1-line block ×5, first 2 shown]
	v_add_co_ci_u32_e32 v101, vcc_lo, 0, v37, vcc_lo
	s_clause 0x2
	global_load_b128 v[36:39], v[40:41], off offset:112
	global_load_b128 v[40:43], v[40:41], off offset:2400
	;; [unrolled: 1-line block ×3, first 2 shown]
	v_mad_u64_u32 v[102:103], null, s4, v254, 0
	v_mov_b32_e32 v56, v89
	ds_load_b128 v[48:51], v245
	ds_load_b128 v[52:55], v245 offset:2288
	s_mul_i32 s0, s5, 0x8f0
	s_mul_hi_u32 s1, s4, 0x8f0
	s_mul_i32 s2, s4, 0x8f0
	v_mad_u64_u32 v[72:73], null, s7, v148, v[56:57]
	v_mov_b32_e32 v64, v103
	ds_load_b128 v[56:59], v245 offset:4576
	ds_load_b128 v[60:63], v245 offset:6864
	s_add_i32 s3, s1, s0
	s_mov_b32 s0, 0x2ab08acf
	s_mov_b32 s1, 0x3f41a06e
	v_mad_u64_u32 v[90:91], null, s5, v254, v[64:65]
	ds_load_b128 v[64:67], v245 offset:9152
	ds_load_b128 v[68:71], v245 offset:11440
	v_mov_b32_e32 v89, v72
	ds_load_b128 v[72:75], v245 offset:13728
	ds_load_b128 v[76:79], v245 offset:16016
	;; [unrolled: 1-line block ×4, first 2 shown]
	v_mov_b32_e32 v103, v90
	v_lshlrev_b64 v[104:105], 4, v[88:89]
	ds_load_b128 v[88:91], v245 offset:22880
	ds_load_b128 v[92:95], v245 offset:25168
	;; [unrolled: 1-line block ×3, first 2 shown]
	v_lshlrev_b64 v[102:103], 4, v[102:103]
	v_add_co_u32 v128, vcc_lo, s12, v104
	v_add_co_ci_u32_e32 v129, vcc_lo, s13, v105, vcc_lo
	s_delay_alu instid0(VALU_DEP_2) | instskip(NEXT) | instid1(VALU_DEP_2)
	v_add_co_u32 v102, vcc_lo, v128, v102
	v_add_co_ci_u32_e32 v103, vcc_lo, v129, v103, vcc_lo
	s_delay_alu instid0(VALU_DEP_2) | instskip(NEXT) | instid1(VALU_DEP_2)
	;; [unrolled: 3-line block ×3, first 2 shown]
	v_add_co_u32 v130, vcc_lo, v128, s2
	v_add_co_ci_u32_e32 v131, vcc_lo, s3, v129, vcc_lo
	s_waitcnt vmcnt(11) lgkmcnt(12)
	v_mul_f64 v[104:105], v[50:51], v[2:3]
	v_mul_f64 v[2:3], v[48:49], v[2:3]
	s_waitcnt vmcnt(10) lgkmcnt(11)
	v_mul_f64 v[106:107], v[54:55], v[6:7]
	v_mul_f64 v[6:7], v[52:53], v[6:7]
	;; [unrolled: 3-line block ×12, first 2 shown]
	v_fma_f64 v[48:49], v[48:49], v[0:1], v[104:105]
	v_fma_f64 v[2:3], v[0:1], v[50:51], -v[2:3]
	v_fma_f64 v[50:51], v[52:53], v[4:5], v[106:107]
	v_fma_f64 v[6:7], v[4:5], v[54:55], -v[6:7]
	;; [unrolled: 2-line block ×12, first 2 shown]
	v_add_co_u32 v72, vcc_lo, v130, s2
	v_add_co_ci_u32_e32 v73, vcc_lo, s3, v131, vcc_lo
	s_delay_alu instid0(VALU_DEP_2) | instskip(NEXT) | instid1(VALU_DEP_2)
	v_add_co_u32 v74, vcc_lo, v72, s2
	v_add_co_ci_u32_e32 v75, vcc_lo, s3, v73, vcc_lo
	s_delay_alu instid0(VALU_DEP_2) | instskip(NEXT) | instid1(VALU_DEP_2)
	v_add_co_u32 v76, vcc_lo, v74, s2
	v_add_co_ci_u32_e32 v77, vcc_lo, s3, v75, vcc_lo
	v_mul_f64 v[0:1], v[48:49], s[0:1]
	v_mul_f64 v[2:3], v[2:3], s[0:1]
	;; [unrolled: 1-line block ×24, first 2 shown]
	v_add_co_u32 v48, vcc_lo, v76, s2
	v_add_co_ci_u32_e32 v49, vcc_lo, s3, v77, vcc_lo
	s_delay_alu instid0(VALU_DEP_2) | instskip(NEXT) | instid1(VALU_DEP_2)
	v_add_co_u32 v50, vcc_lo, v48, s2
	v_add_co_ci_u32_e32 v51, vcc_lo, s3, v49, vcc_lo
	s_delay_alu instid0(VALU_DEP_2) | instskip(NEXT) | instid1(VALU_DEP_2)
	;; [unrolled: 3-line block ×5, first 2 shown]
	v_add_co_u32 v58, vcc_lo, v56, s2
	v_add_co_ci_u32_e32 v59, vcc_lo, s3, v57, vcc_lo
	s_clause 0x4
	global_store_b128 v[102:103], v[0:3], off
	global_store_b128 v[128:129], v[4:7], off
	;; [unrolled: 1-line block ×12, first 2 shown]
	global_load_b128 v[0:3], v[100:101], off offset:2880
	s_waitcnt vmcnt(0) lgkmcnt(0)
	v_mul_f64 v[4:5], v[98:99], v[2:3]
	v_mul_f64 v[2:3], v[96:97], v[2:3]
	s_delay_alu instid0(VALU_DEP_2) | instskip(NEXT) | instid1(VALU_DEP_2)
	v_fma_f64 v[4:5], v[96:97], v[0:1], v[4:5]
	v_fma_f64 v[2:3], v[0:1], v[98:99], -v[2:3]
	s_delay_alu instid0(VALU_DEP_2) | instskip(NEXT) | instid1(VALU_DEP_2)
	v_mul_f64 v[0:1], v[4:5], s[0:1]
	v_mul_f64 v[2:3], v[2:3], s[0:1]
	v_add_co_u32 v4, vcc_lo, v58, s2
	v_add_co_ci_u32_e32 v5, vcc_lo, s3, v59, vcc_lo
	global_store_b128 v[4:5], v[0:3], off
.LBB0_23:
	s_nop 0
	s_sendmsg sendmsg(MSG_DEALLOC_VGPRS)
	s_endpgm
	.section	.rodata,"a",@progbits
	.p2align	6, 0x0
	.amdhsa_kernel bluestein_single_back_len1859_dim1_dp_op_CI_CI
		.amdhsa_group_segment_fixed_size 29744
		.amdhsa_private_segment_fixed_size 20
		.amdhsa_kernarg_size 104
		.amdhsa_user_sgpr_count 15
		.amdhsa_user_sgpr_dispatch_ptr 0
		.amdhsa_user_sgpr_queue_ptr 0
		.amdhsa_user_sgpr_kernarg_segment_ptr 1
		.amdhsa_user_sgpr_dispatch_id 0
		.amdhsa_user_sgpr_private_segment_size 0
		.amdhsa_wavefront_size32 1
		.amdhsa_uses_dynamic_stack 0
		.amdhsa_enable_private_segment 1
		.amdhsa_system_sgpr_workgroup_id_x 1
		.amdhsa_system_sgpr_workgroup_id_y 0
		.amdhsa_system_sgpr_workgroup_id_z 0
		.amdhsa_system_sgpr_workgroup_info 0
		.amdhsa_system_vgpr_workitem_id 0
		.amdhsa_next_free_vgpr 256
		.amdhsa_next_free_sgpr 46
		.amdhsa_reserve_vcc 1
		.amdhsa_float_round_mode_32 0
		.amdhsa_float_round_mode_16_64 0
		.amdhsa_float_denorm_mode_32 3
		.amdhsa_float_denorm_mode_16_64 3
		.amdhsa_dx10_clamp 1
		.amdhsa_ieee_mode 1
		.amdhsa_fp16_overflow 0
		.amdhsa_workgroup_processor_mode 1
		.amdhsa_memory_ordered 1
		.amdhsa_forward_progress 0
		.amdhsa_shared_vgpr_count 0
		.amdhsa_exception_fp_ieee_invalid_op 0
		.amdhsa_exception_fp_denorm_src 0
		.amdhsa_exception_fp_ieee_div_zero 0
		.amdhsa_exception_fp_ieee_overflow 0
		.amdhsa_exception_fp_ieee_underflow 0
		.amdhsa_exception_fp_ieee_inexact 0
		.amdhsa_exception_int_div_zero 0
	.end_amdhsa_kernel
	.text
.Lfunc_end0:
	.size	bluestein_single_back_len1859_dim1_dp_op_CI_CI, .Lfunc_end0-bluestein_single_back_len1859_dim1_dp_op_CI_CI
                                        ; -- End function
	.section	.AMDGPU.csdata,"",@progbits
; Kernel info:
; codeLenInByte = 27696
; NumSgprs: 48
; NumVgprs: 256
; ScratchSize: 20
; MemoryBound: 0
; FloatMode: 240
; IeeeMode: 1
; LDSByteSize: 29744 bytes/workgroup (compile time only)
; SGPRBlocks: 5
; VGPRBlocks: 31
; NumSGPRsForWavesPerEU: 48
; NumVGPRsForWavesPerEU: 256
; Occupancy: 5
; WaveLimiterHint : 1
; COMPUTE_PGM_RSRC2:SCRATCH_EN: 1
; COMPUTE_PGM_RSRC2:USER_SGPR: 15
; COMPUTE_PGM_RSRC2:TRAP_HANDLER: 0
; COMPUTE_PGM_RSRC2:TGID_X_EN: 1
; COMPUTE_PGM_RSRC2:TGID_Y_EN: 0
; COMPUTE_PGM_RSRC2:TGID_Z_EN: 0
; COMPUTE_PGM_RSRC2:TIDIG_COMP_CNT: 0
	.text
	.p2alignl 7, 3214868480
	.fill 96, 4, 3214868480
	.type	__hip_cuid_a20c23a74debb930,@object ; @__hip_cuid_a20c23a74debb930
	.section	.bss,"aw",@nobits
	.globl	__hip_cuid_a20c23a74debb930
__hip_cuid_a20c23a74debb930:
	.byte	0                               ; 0x0
	.size	__hip_cuid_a20c23a74debb930, 1

	.ident	"AMD clang version 19.0.0git (https://github.com/RadeonOpenCompute/llvm-project roc-6.4.0 25133 c7fe45cf4b819c5991fe208aaa96edf142730f1d)"
	.section	".note.GNU-stack","",@progbits
	.addrsig
	.addrsig_sym __hip_cuid_a20c23a74debb930
	.amdgpu_metadata
---
amdhsa.kernels:
  - .args:
      - .actual_access:  read_only
        .address_space:  global
        .offset:         0
        .size:           8
        .value_kind:     global_buffer
      - .actual_access:  read_only
        .address_space:  global
        .offset:         8
        .size:           8
        .value_kind:     global_buffer
      - .actual_access:  read_only
        .address_space:  global
        .offset:         16
        .size:           8
        .value_kind:     global_buffer
      - .actual_access:  read_only
        .address_space:  global
        .offset:         24
        .size:           8
        .value_kind:     global_buffer
      - .actual_access:  read_only
        .address_space:  global
        .offset:         32
        .size:           8
        .value_kind:     global_buffer
      - .offset:         40
        .size:           8
        .value_kind:     by_value
      - .address_space:  global
        .offset:         48
        .size:           8
        .value_kind:     global_buffer
      - .address_space:  global
        .offset:         56
        .size:           8
        .value_kind:     global_buffer
      - .address_space:  global
        .offset:         64
        .size:           8
        .value_kind:     global_buffer
      - .address_space:  global
        .offset:         72
        .size:           8
        .value_kind:     global_buffer
      - .offset:         80
        .size:           4
        .value_kind:     by_value
      - .address_space:  global
        .offset:         88
        .size:           8
        .value_kind:     global_buffer
      - .address_space:  global
        .offset:         96
        .size:           8
        .value_kind:     global_buffer
    .group_segment_fixed_size: 29744
    .kernarg_segment_align: 8
    .kernarg_segment_size: 104
    .language:       OpenCL C
    .language_version:
      - 2
      - 0
    .max_flat_workgroup_size: 169
    .name:           bluestein_single_back_len1859_dim1_dp_op_CI_CI
    .private_segment_fixed_size: 20
    .sgpr_count:     48
    .sgpr_spill_count: 0
    .symbol:         bluestein_single_back_len1859_dim1_dp_op_CI_CI.kd
    .uniform_work_group_size: 1
    .uses_dynamic_stack: false
    .vgpr_count:     256
    .vgpr_spill_count: 4
    .wavefront_size: 32
    .workgroup_processor_mode: 1
amdhsa.target:   amdgcn-amd-amdhsa--gfx1100
amdhsa.version:
  - 1
  - 2
...

	.end_amdgpu_metadata
